;; amdgpu-corpus repo=ROCm/aiter kind=harvested arch=n/a opt=n/a

/root/src/amdgpu-assembly/repos/ROCm__aiter/hsa/gfx942/fmha_v3_bwd/bwd_hd128_fp16_a32_psskddv_group.co:	file format elf64-amdgpu

Disassembly of section .text:

0000000000003e00 <_ZN5aiter37fmha_bwd_hd128_fp16_a32_psskddv_groupE>:
	s_and_b32 s1, s1, 0xffff                                   // 000000003E00: 8601FF01 0000FFFF
	s_load_dwordx2 s[32:33], s[0:1], 0x0                       // 000000003E08: C0060800 00000000
	s_load_dwordx2 s[36:37], s[0:1], 0x10                      // 000000003E10: C0060900 00000010
	s_load_dwordx2 s[40:41], s[0:1], 0x20                      // 000000003E18: C0060A00 00000020
	s_load_dwordx2 s[8:9], s[0:1], 0x30                        // 000000003E20: C0060200 00000030
	s_load_dwordx2 s[12:13], s[0:1], 0x40                      // 000000003E28: C0060300 00000040
	s_load_dwordx2 s[16:17], s[0:1], 0x50                      // 000000003E30: C0060400 00000050
	s_load_dwordx2 s[20:21], s[0:1], 0x60                      // 000000003E38: C0060500 00000060
	s_load_dwordx2 s[24:25], s[0:1], 0x70                      // 000000003E40: C0060600 00000070
	s_load_dwordx2 s[28:29], s[0:1], 0x80                      // 000000003E48: C0060700 00000080
	s_load_dword s47, s[0:1], 0x90                             // 000000003E50: C0020BC0 00000090
	s_load_dword s48, s[0:1], 0xa0                             // 000000003E58: C0020C00 000000A0
	s_load_dword s74, s[0:1], 0xd0                             // 000000003E60: C0021280 000000D0
	s_load_dword s5, s[0:1], 0xf0                              // 000000003E68: C0020140 000000F0
	s_load_dword s44, s[0:1], 0x100                            // 000000003E70: C0020B00 00000100
	s_load_dword s75, s[0:1], 0x110                            // 000000003E78: C00212C0 00000110
	s_load_dword s6, s[0:1], 0x130                             // 000000003E80: C0020180 00000130
	s_load_dword s52, s[0:1], 0x140                            // 000000003E88: C0020D00 00000140
	s_load_dword s50, s[0:1], 0x160                            // 000000003E90: C0020C80 00000160
	s_load_dword s76, s[0:1], 0x190                            // 000000003E98: C0021300 00000190
	s_load_dword s7, s[0:1], 0x1b0                             // 000000003EA0: C00201C0 000001B0
	s_load_dword s77, s[0:1], 0x1c0                            // 000000003EA8: C0021340 000001C0
	s_load_dword s51, s[0:1], 0x1e0                            // 000000003EB0: C0020CC0 000001E0
	s_load_dword s78, s[0:1], 0x1f0                            // 000000003EB8: C0021380 000001F0
	s_load_dword s79, s[0:1], 0x210                            // 000000003EC0: C00213C0 00000210
	s_load_dword s53, s[0:1], 0x230                            // 000000003EC8: C0020D40 00000230
	s_load_dword s49, s[0:1], 0x240                            // 000000003ED0: C0020C40 00000240
	s_load_dwordx2 s[84:85], s[0:1], 0x250                     // 000000003ED8: C0061500 00000250
	s_load_dwordx2 s[88:89], s[0:1], 0x260                     // 000000003EE0: C0061600 00000260
	s_load_dwordx2 s[92:93], s[0:1], 0x270                     // 000000003EE8: C0061700 00000270
	s_load_dwordx2 s[96:97], s[0:1], 0x280                     // 000000003EF0: C0061800 00000280
	v_lshrrev_b32_e32 v1, 10, v0                               // 000000003EF8: 2002008A
	v_lshrrev_b32_e32 v2, 10, v1                               // 000000003EFC: 2004028A
	v_and_b32_e32 v2, 0x3ff, v2                                // 000000003F00: 260404FF 000003FF
	v_and_b32_e32 v1, 0x3ff, v1                                // 000000003F08: 260202FF 000003FF
	v_and_b32_e32 v0, 0x3ff, v0                                // 000000003F10: 260000FF 000003FF
	v_lshrrev_b32_e32 v3, 6, v0                                // 000000003F18: 20060086
	v_and_b32_e32 v0, 63, v0                                   // 000000003F1C: 260000BF
	s_mov_b32 s2, s2                                           // 000000003F20: BE820002
	s_mov_b32 s3, s3                                           // 000000003F24: BE830003
	s_mov_b32 s4, s4                                           // 000000003F28: BE840004
	v_readfirstlane_b32 s46, v3                                // 000000003F2C: 7E5C0503
	s_waitcnt lgkmcnt(0)                                       // 000000003F30: BF8CC07F
	s_mul_i32 s60, s4, 4                                       // 000000003F34: 923C8404
	s_add_u32 s84, s60, s84                                    // 000000003F38: 8054543C
	s_addc_u32 s85, 0, s85                                     // 000000003F3C: 82555580
	s_load_dwordx2 s[80:81], s[84:85], 0x0                     // 000000003F40: C006142A 00000000
	s_add_u32 s92, s60, s92                                    // 000000003F48: 805C5C3C
	s_addc_u32 s93, 0, s93                                     // 000000003F4C: 825D5D80
	s_load_dword s86, s[92:93], 0x0                            // 000000003F50: C00215AE 00000000
	s_add_u32 s88, s60, s88                                    // 000000003F58: 8058583C
	s_addc_u32 s89, 0, s89                                     // 000000003F5C: 82595980
	s_load_dwordx2 s[82:83], s[88:89], 0x0                     // 000000003F60: C00614AC 00000000
	s_add_u32 s96, s60, s96                                    // 000000003F68: 8060603C
	s_addc_u32 s97, 0, s97                                     // 000000003F6C: 82616180
	s_load_dword s87, s[96:97], 0x0                            // 000000003F70: C00215F0 00000000
	s_mov_b32 s11, 0x20000                                     // 000000003F78: BE8B00FF 00020000
	s_mov_b32 s15, 0x20000                                     // 000000003F80: BE8F00FF 00020000
	s_mov_b32 s19, 0x20000                                     // 000000003F88: BE9300FF 00020000
	s_mov_b32 s23, 0x20000                                     // 000000003F90: BE9700FF 00020000
	s_mov_b32 s27, 0x20000                                     // 000000003F98: BE9B00FF 00020000
	s_mov_b32 s31, 0x20000                                     // 000000003FA0: BE9F00FF 00020000
	s_mov_b32 s35, 0x20000                                     // 000000003FA8: BEA300FF 00020000
	s_mov_b32 s39, 0x20000                                     // 000000003FB0: BEA700FF 00020000
	s_mov_b32 s43, 0x20000                                     // 000000003FB8: BEAB00FF 00020000
	s_and_b32 s9, s9, 0xffff                                   // 000000003FC0: 8609FF09 0000FFFF
	s_and_b32 s13, s13, 0xffff                                 // 000000003FC8: 860DFF0D 0000FFFF
	s_and_b32 s17, s17, 0xffff                                 // 000000003FD0: 8611FF11 0000FFFF
	s_and_b32 s21, s21, 0xffff                                 // 000000003FD8: 8615FF15 0000FFFF
	s_and_b32 s25, s25, 0xffff                                 // 000000003FE0: 8619FF19 0000FFFF
	s_and_b32 s29, s29, 0xffff                                 // 000000003FE8: 861DFF1D 0000FFFF
	s_and_b32 s33, s33, 0xffff                                 // 000000003FF0: 8621FF21 0000FFFF
	s_and_b32 s37, s37, 0xffff                                 // 000000003FF8: 8625FF25 0000FFFF
	s_and_b32 s41, s41, 0xffff                                 // 000000004000: 8629FF29 0000FFFF
	s_or_b32 s9, s9, 0x40000                                   // 000000004008: 8709FF09 00040000
	s_or_b32 s13, s13, 0x40000                                 // 000000004010: 870DFF0D 00040000
	s_or_b32 s17, s17, 0x40000                                 // 000000004018: 8711FF11 00040000
	s_or_b32 s21, s21, 0x40000                                 // 000000004020: 8715FF15 00040000
	s_or_b32 s25, s25, 0x40000                                 // 000000004028: 8719FF19 00040000
	s_or_b32 s29, s29, 0x40000                                 // 000000004030: 871DFF1D 00040000
	s_or_b32 s33, s33, 0x40000                                 // 000000004038: 8721FF21 00040000
	s_or_b32 s37, s37, 0x40000                                 // 000000004040: 8725FF25 00040000
	s_or_b32 s41, s41, 0x40000                                 // 000000004048: 8729FF29 00040000
	s_waitcnt lgkmcnt(0)                                       // 000000004050: BF8CC07F
	s_mul_i32 s61, s2, 0xc0                                    // 000000004054: 923DFF02 000000C0
	s_sub_i32 s83, s83, s82                                    // 00000000405C: 81D35253
	s_mov_b32 s82, s87                                         // 000000004060: BED20057
	s_sub_i32 s81, s81, s80                                    // 000000004064: 81D15051
	s_mov_b32 s80, s86                                         // 000000004068: BED00056
	s_cmp_gt_i32 s81, 0                                        // 00000000406C: BF028051
	s_cbranch_scc0 label_1874                                  // 000000004070: BF8417C3
	s_mov_b32 s58, s81                                         // 000000004074: BEBA0051
	s_mov_b32 s59, 0                                           // 000000004078: BEBB0080
	s_cmp_ge_i32 s61, s83                                      // 00000000407C: BF03533D
	s_cbranch_scc1 label_1874                                  // 000000004080: BF8517BF
	v_accvgpr_write_b32 a255, 0                                // 000000004084: D3D940FF 18000080
	v_mov_b32_e32 v251, 0                                      // 00000000408C: 7FF60280
	s_mov_b32 s71, s3                                          // 000000004090: BEC70003
	v_cvt_f32_u32_e32 v28, s44                                 // 000000004094: 7E380C2C
	s_sub_i32 s60, 0, s44                                      // 000000004098: 81BC2C80
	v_rcp_iflag_f32_e32 v28, v28                               // 00000000409C: 7E38471C
	s_nop 0                                                    // 0000000040A0: BF800000
	v_mul_f32_e32 v28, 0x4f7ffffe, v28                         // 0000000040A4: 0A3838FF 4F7FFFFE
	v_cvt_u32_f32_e32 v28, v28                                 // 0000000040AC: 7E380F1C
	v_mul_lo_u32 v29, s60, v28                                 // 0000000040B0: D285001D 0002383C
	v_mul_hi_u32 v29, v28, v29                                 // 0000000040B8: D286001D 00023B1C
	v_add_u32_e32 v28, v28, v29                                // 0000000040C0: 68383B1C
	v_mul_hi_u32 v28, s71, v28                                 // 0000000040C4: D286001C 00023847
	v_mul_lo_u32 v29, v28, s44                                 // 0000000040CC: D285001D 0000591C
	v_sub_u32_e32 v31, s71, v29                                // 0000000040D4: 6A3E3A47
	v_add_u32_e32 v30, 1, v28                                  // 0000000040D8: 683C3881
	v_cmp_le_u32_e32 vcc, s44, v31                             // 0000000040DC: 7D963E2C
	v_subrev_u32_e32 v29, s44, v31                             // 0000000040E0: 6C3A3E2C
	s_nop 0                                                    // 0000000040E4: BF800000
	v_cndmask_b32_e32 v28, v28, v30, vcc                       // 0000000040E8: 00383D1C
	v_cndmask_b32_e32 v31, v31, v29, vcc                       // 0000000040EC: 003E3B1F
	v_add_u32_e32 v29, 1, v28                                  // 0000000040F0: 683A3881
	v_cmp_le_u32_e32 vcc, s44, v31                             // 0000000040F4: 7D963E2C
	s_nop 1                                                    // 0000000040F8: BF800001
	v_cndmask_b32_e32 v31, v28, v29, vcc                       // 0000000040FC: 003E3B1C
	s_nop 3                                                    // 000000004100: BF800003
	v_readfirstlane_b32 s45, v31                               // 000000004104: 7E5A051F
	s_nop 3                                                    // 000000004108: BF800003
	s_mov_b32 s84, s8                                          // 00000000410C: BED40008
	s_mov_b32 s86, s12                                         // 000000004110: BED6000C
	s_mov_b32 s88, s16                                         // 000000004114: BED80010
	s_mov_b32 s90, s20                                         // 000000004118: BEDA0014
	s_mov_b32 s85, s9                                          // 00000000411C: BED50009
	s_mov_b32 s87, s13                                         // 000000004120: BED7000D
	s_mov_b32 s89, s17                                         // 000000004124: BED90011
	s_mov_b32 s91, s21                                         // 000000004128: BEDB0015
	v_mov_b32_e32 v28, s47                                     // 00000000412C: 7E38022F
	v_mul_f32_e32 v28, s48, v28                                // 000000004130: 0A383830
	s_mov_b32 s66, 0                                           // 000000004134: BEC20080
	s_mov_b32 s63, 0x5040100                                   // 000000004138: BEBF00FF 05040100
	s_mov_b32 s64, 0x7060302                                   // 000000004140: BEC000FF 07060302
	v_readfirstlane_b32 s57, v28                               // 000000004148: 7E72051C
	v_mov_b32_e32 v30, 0x3020706                               // 00000000414C: 7E3C02FF 03020706
	v_mov_b32_e32 v28, s63                                     // 000000004154: 7E38023F
	v_and_b32_e32 v29, 1, v0                                   // 000000004158: 263A0081
	v_cmp_eq_u32_e32 vcc, 1, v29                               // 00000000415C: 7D943A81
	s_mul_i32 s60, s50, 64                                     // 000000004160: 923CC032
	s_mov_b32 s67, s60                                         // 000000004164: BEC3003C
	v_cndmask_b32_e32 v15, v28, v30, vcc                       // 000000004168: 001E3D1C
	v_mov_b32_e32 v151, 0xff800000                             // 00000000416C: 7F2E02FF FF800000
	s_mul_i32 s68, 4, s5                                       // 000000004174: 92440584
	s_mul_i32 s101, 4, s51                                     // 000000004178: 92653384
	s_mov_b32 s69, 16                                          // 00000000417C: BEC50090
	s_mul_i32 s60, s6, 0xc0                                    // 000000004180: 923CFF06 000000C0
	s_mul_i32 s60, s2, s60                                     // 000000004188: 923C3C02
	s_mul_i32 s61, s45, s75                                    // 00000000418C: 923D4B2D
	s_add_u32 s54, s60, s61                                    // 000000004190: 80363D3C
	s_mul_i32 s60, s2, 0xc0                                    // 000000004194: 923CFF02 000000C0
	s_sub_i32 s60, s83, s60                                    // 00000000419C: 81BC3C53
	s_mul_i32 s60, s6, s60                                     // 0000000041A0: 923C3C06
	s_lshr_b32 s60, s60, 2                                     // 0000000041A4: 8F3C823C
	s_mov_b32 s14, s60                                         // 0000000041A8: BE8E003C
	s_add_u32 s12, s54, s86                                    // 0000000041AC: 800C5636
	s_addc_u32 s13, 0, s87                                     // 0000000041B0: 820D5780
	s_mul_i32 s60, s82, s6                                     // 0000000041B4: 923C0652
	s_mul_hi_u32 s61, s82, s6                                  // 0000000041B8: 963D0652
	s_and_b32 s61, s61, 0xffff                                 // 0000000041BC: 863DFF3D 0000FFFF
	s_add_u32 s12, s12, s60                                    // 0000000041C4: 800C3C0C
	s_addc_u32 s13, s13, s61                                   // 0000000041C8: 820D3D0D
	s_mul_i32 s60, s7, 0xc0                                    // 0000000041CC: 923CFF07 000000C0
	s_mul_i32 s60, s2, s60                                     // 0000000041D4: 923C3C02
	s_mul_i32 s61, s45, s76                                    // 0000000041D8: 923D4C2D
	s_add_u32 s54, s60, s61                                    // 0000000041DC: 80363D3C
	s_mul_i32 s60, s2, 0xc0                                    // 0000000041E0: 923CFF02 000000C0
	s_sub_i32 s60, s83, s60                                    // 0000000041E8: 81BC3C53
	s_mul_i32 s60, s7, s60                                     // 0000000041EC: 923C3C07
	s_lshr_b32 s60, s60, 2                                     // 0000000041F0: 8F3C823C
	s_mov_b32 s18, s60                                         // 0000000041F4: BE92003C
	s_add_u32 s16, s54, s88                                    // 0000000041F8: 80105836
	s_addc_u32 s17, 0, s89                                     // 0000000041FC: 82115980
	s_mul_i32 s60, s82, s7                                     // 000000004200: 923C0752
	s_mul_hi_u32 s61, s82, s7                                  // 000000004204: 963D0752
	s_and_b32 s61, s61, 0xffff                                 // 000000004208: 863DFF3D 0000FFFF
	s_add_u32 s16, s16, s60                                    // 000000004210: 80103C10
	s_addc_u32 s17, s17, s61                                   // 000000004214: 82113D11
	s_mul_i32 s61, s3, s74                                     // 000000004218: 923D4A03
	s_mov_b32 s55, s61                                         // 00000000421C: BEB7003D
	s_mul_i32 s60, s5, s81                                     // 000000004220: 923C5105
	s_lshr_b32 s60, s60, 2                                     // 000000004224: 8F3C823C
	s_mov_b32 s10, s60                                         // 000000004228: BE8A003C
	s_add_u32 s8, s55, s84                                     // 00000000422C: 80085437
	s_addc_u32 s9, 0, s85                                      // 000000004230: 82095580
	s_mul_i32 s60, s80, s5                                     // 000000004234: 923C0550
	s_mul_hi_u32 s61, s80, s5                                  // 000000004238: 963D0550
	s_and_b32 s61, s61, 0xffff                                 // 00000000423C: 863DFF3D 0000FFFF
	s_add_u32 s8, s8, s60                                      // 000000004244: 80083C08
	s_addc_u32 s9, s9, s61                                     // 000000004248: 82093D09
	s_mul_i32 s61, s3, s77                                     // 00000000424C: 923D4D03
	s_mov_b32 s56, s61                                         // 000000004250: BEB8003D
	s_mul_i32 s60, s51, s81                                    // 000000004254: 923C5133
	s_lshr_b32 s60, s60, 2                                     // 000000004258: 8F3C823C
	s_mov_b32 s22, s60                                         // 00000000425C: BE96003C
	s_add_u32 s20, s56, s90                                    // 000000004260: 80145A38
	s_addc_u32 s21, 0, s91                                     // 000000004264: 82155B80
	s_mul_i32 s60, s80, s51                                    // 000000004268: 923C3350
	s_mul_hi_u32 s61, s80, s51                                 // 00000000426C: 963D3350
	s_and_b32 s61, s61, 0xffff                                 // 000000004270: 863DFF3D 0000FFFF
	s_add_u32 s20, s20, s60                                    // 000000004278: 80143C14
	s_addc_u32 s21, s21, s61                                   // 00000000427C: 82153D15
	s_mul_i32 s62, 4, s80                                      // 000000004280: 923E5084
	s_mul_i32 s61, s3, s49                                     // 000000004284: 923D3103
	s_add_u32 s65, s61, s62                                    // 000000004288: 80413E3D
	s_mul_i32 s60, 4, s81                                      // 00000000428C: 923C5184
	s_add_u32 s60, s60, s61                                    // 000000004290: 803C3D3C
	s_add_u32 s60, s60, s62                                    // 000000004294: 803C3E3C
	s_lshr_b32 s60, s60, 2                                     // 000000004298: 8F3C823C
	s_mov_b32 s26, s60                                         // 00000000429C: BE9A003C
	s_mov_b32 s30, s60                                         // 0000000042A0: BE9E003C
	s_cmp_lt_u32 s46, 2                                        // 0000000042A4: BF0A822E
	s_cselect_b32 s24, s24, s28                                // 0000000042A8: 85181C18
	s_cselect_b32 s25, s25, s29                                // 0000000042AC: 85191D19
	s_cselect_b32 s26, s26, s30                                // 0000000042B0: 851A1E1A
	s_cselect_b32 s27, s27, s31                                // 0000000042B4: 851B1F1B
	s_mov_b32 s71, s6                                          // 0000000042B8: BEC70006
	v_lshrrev_b32_e32 v28, 4, v0                               // 0000000042BC: 20380084
	v_and_b32_e32 v29, 1, v28                                  // 0000000042C0: 263A3881
	v_lshlrev_b32_e32 v29, 1, v29                              // 0000000042C4: 243A3A81
	v_mul_i32_i24_e32 v29, s71, v29                            // 0000000042C8: 0C3A3A47
	v_and_b32_e32 v30, 2, v28                                  // 0000000042CC: 263C3882
	v_lshlrev_b32_e32 v30, 5, v30                              // 0000000042D0: 243C3C85
	v_add_u32_e32 v29, v30, v29                                // 0000000042D4: 683A3B1E
	v_and_b32_e32 v28, 15, v0                                  // 0000000042D8: 2638008F
	v_lshlrev_b32_e32 v28, 2, v28                              // 0000000042DC: 24383882
	v_add_u32_e32 v1, v28, v29                                 // 0000000042E0: 68023B1C
	s_and_b32 s60, 1, s46                                      // 0000000042E4: 863C2E81
	s_mul_i32 s60, s60, s71                                    // 0000000042E8: 923C473C
	s_mul_i32 s60, s60, 8                                      // 0000000042EC: 923C883C
	s_lshr_b32 s61, s46, 1                                     // 0000000042F0: 8F3D812E
	s_mul_i32 s61, s61, 0x80                                   // 0000000042F4: 923DFF3D 00000080
	s_add_u32 s60, s60, s61                                    // 0000000042FC: 803C3D3C
	v_add_u32_e32 v1, s60, v1                                  // 000000004300: 6802023C
	v_add_u32_e32 v2, s71, v1                                  // 000000004304: 68040247
	s_mul_i32 s60, 4, s71                                      // 000000004308: 923C4784
	v_add_u32_e32 v3, s60, v1                                  // 00000000430C: 6806023C
	v_add_u32_e32 v4, s60, v2                                  // 000000004310: 6808043C
	s_mov_b32 s71, s7                                          // 000000004314: BEC70007
	v_lshrrev_b32_e32 v28, 4, v0                               // 000000004318: 20380084
	v_and_b32_e32 v29, 1, v28                                  // 00000000431C: 263A3881
	v_lshlrev_b32_e32 v29, 1, v29                              // 000000004320: 243A3A81
	v_mul_i32_i24_e32 v29, s71, v29                            // 000000004324: 0C3A3A47
	v_and_b32_e32 v30, 2, v28                                  // 000000004328: 263C3882
	v_lshlrev_b32_e32 v30, 5, v30                              // 00000000432C: 243C3C85
	v_add_u32_e32 v29, v30, v29                                // 000000004330: 683A3B1E
	v_and_b32_e32 v28, 15, v0                                  // 000000004334: 2638008F
	v_lshlrev_b32_e32 v28, 2, v28                              // 000000004338: 24383882
	v_add_u32_e32 v248, v28, v29                               // 00000000433C: 69F03B1C
	s_and_b32 s60, 1, s46                                      // 000000004340: 863C2E81
	s_mul_i32 s60, s60, s71                                    // 000000004344: 923C473C
	s_mul_i32 s60, s60, 8                                      // 000000004348: 923C883C
	s_lshr_b32 s61, s46, 1                                     // 00000000434C: 8F3D812E
	s_mul_i32 s61, s61, 0x80                                   // 000000004350: 923DFF3D 00000080
	s_add_u32 s60, s60, s61                                    // 000000004358: 803C3D3C
	v_add_u32_e32 v248, s60, v248                              // 00000000435C: 69F1F03C
	v_add_u32_e32 v249, s71, v248                              // 000000004360: 69F3F047
	s_mul_i32 s60, 4, s71                                      // 000000004364: 923C4784
	v_add_u32_e32 v250, s60, v248                              // 000000004368: 69F5F03C
	v_add_u32_e32 v251, s60, v249                              // 00000000436C: 69F7F23C
	v_lshrrev_b32_e32 v1, 2, v1                                // 000000004370: 20020282
	v_lshrrev_b32_e32 v2, 2, v2                                // 000000004374: 20040482
	;; [unrolled: 1-line block ×3, first 2 shown]
	v_lshrrev_b32_e32 v4, 2, v4                                // 00000000437C: 20080882
	v_lshrrev_b32_e32 v248, 2, v248                            // 000000004380: 21F1F082
	v_lshrrev_b32_e32 v249, 2, v249                            // 000000004384: 21F3F282
	v_lshrrev_b32_e32 v250, 2, v250                            // 000000004388: 21F5F482
	v_lshrrev_b32_e32 v251, 2, v251                            // 00000000438C: 21F7F682
	v_and_b32_e32 v9, 15, v0                                   // 000000004390: 2612008F
	v_lshlrev_b32_e32 v9, 2, v9                                // 000000004394: 24121282
	v_add_u32_e32 v9, s65, v9                                  // 000000004398: 68121241
	v_lshrrev_b32_e32 v9, 2, v9                                // 00000000439C: 20121282
	s_mov_b32 s70, s52                                         // 0000000043A0: BEC60034
	v_lshrrev_b32_e32 v28, 4, v0                               // 0000000043A4: 20380084
	v_mul_i32_i24_e32 v5, s70, v28                             // 0000000043A8: 0C0A3846
	v_lshrrev_b32_e32 v5, 2, v5                                // 0000000043AC: 200A0A82
	v_and_b32_e32 v28, 15, v0                                  // 0000000043B0: 2638008F
	v_lshlrev_b32_e32 v29, 2, v28                              // 0000000043B4: 243A3882
	v_add_u32_e32 v5, v29, v5                                  // 0000000043B8: 680A0B1D
	s_mul_i32 s60, 16, s70                                     // 0000000043BC: 923C4690
	s_mul_i32 s60, s46, s60                                    // 0000000043C0: 923C3C2E
	v_lshlrev_b32_e32 v5, 2, v5                                // 0000000043C4: 240A0A82
	v_add_u32_e32 v5, s60, v5                                  // 0000000043C8: 680A0A3C
	s_mul_i32 s60, 0xc0, s52                                   // 0000000043CC: 923C34FF 000000C0
	s_mul_i32 s60, s2, s60                                     // 0000000043D4: 923C3C02
	s_mul_i32 s61, s3, s78                                     // 0000000043D8: 923D4E03
	s_mul_i32 s62, s82, s52                                    // 0000000043DC: 923E3452
	s_add_u32 s60, s60, s61                                    // 0000000043E0: 803C3D3C
	v_add_u32_e32 v5, s60, v5                                  // 0000000043E4: 680A0A3C
	v_lshrrev_b32_e32 v5, 2, v5                                // 0000000043E8: 200A0A82
	s_mul_i32 s60, s83, s52                                    // 0000000043EC: 923C3453
	s_add_u32 s60, s60, s61                                    // 0000000043F0: 803C3D3C
	s_lshr_b32 s60, s60, 2                                     // 0000000043F4: 8F3C823C
	s_mov_b32 s38, s60                                         // 0000000043F8: BEA6003C
	s_mul_hi_u32 s61, s82, s52                                 // 0000000043FC: 963D3452
	s_and_b32 s61, s61, 0xffff                                 // 000000004400: 863DFF3D 0000FFFF
	s_add_u32 s36, s62, s36                                    // 000000004408: 8024243E
	s_addc_u32 s37, s61, s37                                   // 00000000440C: 8225253D
	s_mov_b32 s70, s53                                         // 000000004410: BEC60035
	v_lshrrev_b32_e32 v28, 4, v0                               // 000000004414: 20380084
	v_mul_i32_i24_e32 v6, s70, v28                             // 000000004418: 0C0C3846
	v_lshrrev_b32_e32 v6, 2, v6                                // 00000000441C: 200C0C82
	v_and_b32_e32 v28, 15, v0                                  // 000000004420: 2638008F
	v_lshlrev_b32_e32 v29, 2, v28                              // 000000004424: 243A3882
	v_add_u32_e32 v6, v29, v6                                  // 000000004428: 680C0D1D
	s_mul_i32 s60, 16, s70                                     // 00000000442C: 923C4690
	s_mul_i32 s60, s46, s60                                    // 000000004430: 923C3C2E
	v_lshlrev_b32_e32 v6, 2, v6                                // 000000004434: 240C0C82
	v_add_u32_e32 v6, s60, v6                                  // 000000004438: 680C0C3C
	s_mul_i32 s60, 0xc0, s53                                   // 00000000443C: 923C35FF 000000C0
	s_mul_i32 s60, s2, s60                                     // 000000004444: 923C3C02
	s_mul_i32 s61, s3, s79                                     // 000000004448: 923D4F03
	s_mul_i32 s62, s82, s53                                    // 00000000444C: 923E3552
	s_add_u32 s60, s60, s61                                    // 000000004450: 803C3D3C
	v_add_u32_e32 v6, s60, v6                                  // 000000004454: 680C0C3C
	v_lshrrev_b32_e32 v6, 2, v6                                // 000000004458: 200C0C82
	s_mul_i32 s60, s83, s53                                    // 00000000445C: 923C3553
	s_add_u32 s60, s60, s61                                    // 000000004460: 803C3D3C
	s_lshr_b32 s60, s60, 2                                     // 000000004464: 8F3C823C
	s_mov_b32 s42, s60                                         // 000000004468: BEAA003C
	s_mul_hi_u32 s61, s82, s53                                 // 00000000446C: 963D3552
	s_and_b32 s61, s61, 0xffff                                 // 000000004470: 863DFF3D 0000FFFF
	s_add_u32 s40, s62, s40                                    // 000000004478: 8028283E
	s_addc_u32 s41, s61, s41                                   // 00000000447C: 8229293D
	v_lshrrev_b32_e32 v28, 5, v0                               // 000000004480: 20380085
	v_mul_i32_i24_e64 v29, s50, 2                              // 000000004484: D106001D 00010432
	v_mul_i32_i24_e32 v7, v29, v28                             // 00000000448C: 0C0E391D
	v_and_b32_e32 v28, 31, v0                                  // 000000004490: 2638009F
	v_add_u32_e32 v7, v28, v7                                  // 000000004494: 680E0F1C
	s_mul_i32 s60, 4, s50                                      // 000000004498: 923C3284
	s_mul_i32 s60, s46, s60                                    // 00000000449C: 923C3C2E
	v_add_u32_e32 v7, s60, v7                                  // 0000000044A0: 680E0E3C
	v_lshlrev_b32_e32 v7, 2, v7                                // 0000000044A4: 240E0E82
	v_mul_i32_i24_e32 v29, 2, v29                              // 0000000044A8: 0C3A3A82
	v_add_u32_e32 v8, v29, v7                                  // 0000000044AC: 68100F1D
	s_mul_i32 s72, s50, s65                                    // 0000000044B0: 92484132
	s_mul_hi_u32 s62, s50, s65                                 // 0000000044B4: 963E4132
	s_and_b32 s62, s62, 0xffff                                 // 0000000044B8: 863EFF3E 0000FFFF
	s_add_u32 s32, s72, s32                                    // 0000000044C0: 80202048
	s_addc_u32 s33, s62, s33                                   // 0000000044C4: 8221213E
	s_mul_i32 s60, s50, s81                                    // 0000000044C8: 923C5132
	s_lshl_b32 s60, s60, 2                                     // 0000000044CC: 8E3C823C
	s_mov_b32 s34, s60                                         // 0000000044D0: BEA2003C
	s_mul_i32 s60, 3, s2                                       // 0000000044D4: 923C0283
	s_add_u32 s61, s83, 63                                     // 0000000044D8: 803DBF53
	s_lshr_b32 s61, s61, 6                                     // 0000000044DC: 8F3D863D
	s_sub_i32 s73, s61, s60                                    // 0000000044E0: 81C93C3D
	s_cmp_lt_i32 s73, 3                                        // 0000000044E4: BF048349
	s_cselect_b32 s73, s73, 3                                  // 0000000044E8: 85498349
	s_mul_i32 s60, 0xc0, s2                                    // 0000000044EC: 923C02FF 000000C0
	s_sub_i32 s81, s83, s60                                    // 0000000044F4: 81D13C53
	s_lshr_b32 s60, s46, 1                                     // 0000000044F8: 8F3C812E
	s_lshl_b32 s60, s60, 8                                     // 0000000044FC: 8E3C883C
	s_add_u32 s74, 0xc600, s60                                 // 000000004500: 804A3CFF 0000C600
	s_add_u32 s75, 0x200, s74                                  // 000000004508: 804B4AFF 00000200
	s_mov_b32 m0, s74                                          // 000000004510: BEFC004A
	v_lshrrev_b32_e32 v28, 2, v0                               // 000000004514: 20380082
	v_and_b32_e32 v29, 3, v28                                  // 000000004518: 263A3883
	v_lshrrev_b32_e32 v30, 3, v28                              // 00000000451C: 203C3883
	v_lshlrev_b32_e32 v30, 2, v30                              // 000000004520: 243C3C82
	v_add_u32_e32 v28, v30, v29                                // 000000004524: 68383B1E
	s_lshr_b32 s60, s46, 1                                     // 000000004528: 8F3C812E
	s_sub_i32 s60, 1, s60                                      // 00000000452C: 81BC3C81
	v_mul_i32_i24_e64 v29, s60, 8                              // 000000004530: D106001D 0001103C
	v_mov_b32_e32 v30, s50                                     // 000000004538: 7E3C0232
	v_sub_u32_e64 v30, v30, 64                                 // 00000000453C: D135001E 0001811E
	v_lshrrev_b32_e32 v30, 3, v30                              // 000000004544: 203C3C83
	v_add_u32_e32 v29, v30, v29                                // 000000004548: 683A3B1E
	v_cmp_lt_u32_e64 s[76:77], v28, v29                        // 00000000454C: D0C9004C 00023B1C
	s_mov_b32 s84, -1                                          // 000000004554: BED400C1
	s_mov_b32 s85, -1                                          // 000000004558: BED500C1
	v_and_b32_e32 v28, 15, v0                                  // 00000000455C: 2638008F
	v_mov_b32_e32 v29, s50                                     // 000000004560: 7E3A0232
	v_lshrrev_b32_e32 v29, 3, v29                              // 000000004564: 203A3A83
	v_cmp_lt_u32_e64 s[88:89], v28, v29                        // 000000004568: D0C90058 00023B1C
	v_and_b32_e32 v28, 31, v0                                  // 000000004570: 2638009F
	v_lshrrev_b32_e32 v28, 1, v28                              // 000000004574: 20383881
	v_and_b32_e32 v29, 1, v28                                  // 000000004578: 263A3881
	v_lshlrev_b32_e32 v29, 4, v29                              // 00000000457C: 243A3A84
	v_and_b32_e32 v30, 2, v28                                  // 000000004580: 263C3882
	v_lshlrev_b32_e32 v30, 2, v30                              // 000000004584: 243C3C82
	v_add_u32_e32 v29, v30, v29                                // 000000004588: 683A3B1E
	v_and_b32_e32 v30, 12, v28                                 // 00000000458C: 263C388C
	v_lshrrev_b32_e32 v30, 1, v30                              // 000000004590: 203C3C81
	v_add_u32_e32 v29, v30, v29                                // 000000004594: 683A3B1E
	v_lshrrev_b32_e32 v28, 5, v0                               // 000000004598: 20380085
	v_mul_i32_i24_e32 v30, 0x80, v28                           // 00000000459C: 0C3C38FF 00000080
	v_add_u32_e32 v29, v30, v29                                // 0000000045A4: 683A3B1E
	v_and_b32_e32 v30, 1, v0                                   // 0000000045A8: 263C0081
	v_add_u32_e32 v11, v30, v29                                // 0000000045AC: 68163B1E
	s_and_b32 s60, 1, s46                                      // 0000000045B0: 863C2E81
	s_mul_i32 s60, s60, 64                                     // 0000000045B4: 923CC03C
	s_lshr_b32 s61, s46, 1                                     // 0000000045B8: 8F3D812E
	s_mul_i32 s61, s61, 0x220                                  // 0000000045BC: 923DFF3D 00000220
	s_add_u32 s60, s60, s61                                    // 0000000045C4: 803C3D3C
	v_add_u32_e32 v11, s60, v11                                // 0000000045C8: 6816163C
	v_lshlrev_b32_e32 v11, 2, v11                              // 0000000045CC: 24161682
	v_lshrrev_b32_e32 v28, 4, v0                               // 0000000045D0: 20380084
	v_and_b32_e32 v29, 1, v28                                  // 0000000045D4: 263A3881
	v_lshlrev_b32_e32 v29, 4, v29                              // 0000000045D8: 243A3A84
	v_and_b32_e32 v30, 2, v28                                  // 0000000045DC: 263C3882
	v_mul_i32_i24_e32 v30, 4, v30                              // 0000000045E0: 0C3C3C84
	v_add_u32_e32 v29, v30, v29                                // 0000000045E4: 683A3B1E
	v_and_b32_e32 v28, 15, v0                                  // 0000000045E8: 2638008F
	v_lshrrev_b32_e32 v30, 2, v28                              // 0000000045EC: 203C3882
	v_lshlrev_b32_e32 v30, 5, v30                              // 0000000045F0: 243C3C85
	v_add_u32_e32 v29, v30, v29                                // 0000000045F4: 683A3B1E
	v_and_b32_e32 v28, 3, v0                                   // 0000000045F8: 26380083
	v_and_b32_e32 v30, 1, v28                                  // 0000000045FC: 263C3881
	v_mul_i32_i24_e32 v30, 0x108, v30                          // 000000004600: 0C3C3CFF 00000108
	v_add_u32_e32 v29, v30, v29                                // 000000004608: 683A3B1E
	v_and_b32_e32 v30, 2, v28                                  // 00000000460C: 263C3882
	v_lshlrev_b32_e32 v30, 1, v30                              // 000000004610: 243C3C81
	v_add_u32_e32 v10, v30, v29                                // 000000004614: 68143B1E
	v_lshlrev_b32_e32 v10, 2, v10                              // 000000004618: 24141482
	s_mul_i32 s60, s46, 0x1100                                 // 00000000461C: 923CFF2E 00001100
	v_add_u32_e32 v22, s60, v10                                // 000000004624: 682C143C
	v_lshrrev_b32_e32 v28, 5, v0                               // 000000004628: 20380085
	v_mul_i32_i24_e32 v13, 0x80, v28                           // 00000000462C: 0C1A38FF 00000080
	v_and_b32_e32 v28, 31, v0                                  // 000000004634: 2638009F
	v_and_b32_e32 v29, 7, v28                                  // 000000004638: 263A3887
	v_and_b32_e32 v30, 1, v29                                  // 00000000463C: 263C3A81
	v_lshlrev_b32_e32 v30, 2, v30                              // 000000004640: 243C3C82
	v_add_u32_e32 v13, v30, v13                                // 000000004644: 681A1B1E
	v_and_b32_e32 v30, 2, v29                                  // 000000004648: 263C3A82
	v_lshlrev_b32_e32 v30, 3, v30                              // 00000000464C: 243C3C83
	v_add_u32_e32 v13, v30, v13                                // 000000004650: 681A1B1E
	v_and_b32_e32 v30, 4, v29                                  // 000000004654: 263C3A84
	v_lshlrev_b32_e32 v30, 1, v30                              // 000000004658: 243C3C81
	v_add_u32_e32 v13, v30, v13                                // 00000000465C: 681A1B1E
	v_lshrrev_b32_e32 v29, 3, v28                              // 000000004660: 203A3883
	v_and_b32_e32 v30, 1, v29                                  // 000000004664: 263C3A81
	v_lshlrev_b32_e32 v30, 1, v30                              // 000000004668: 243C3C81
	v_add_u32_e32 v13, v30, v13                                // 00000000466C: 681A1B1E
	v_and_b32_e32 v30, 2, v29                                  // 000000004670: 263C3A82
	v_lshrrev_b32_e32 v30, 1, v30                              // 000000004674: 203C3C81
	v_add_u32_e32 v13, v30, v13                                // 000000004678: 681A1B1E
	s_and_b32 s60, 1, s46                                      // 00000000467C: 863C2E81
	s_mul_i32 s60, s60, 64                                     // 000000004680: 923CC03C
	s_lshr_b32 s61, s46, 1                                     // 000000004684: 8F3D812E
	s_mul_i32 s61, s61, 0x220                                  // 000000004688: 923DFF3D 00000220
	s_add_u32 s60, s60, s61                                    // 000000004690: 803C3D3C
	v_add_u32_e32 v13, s60, v13                                // 000000004694: 681A1A3C
	v_lshlrev_b32_e32 v13, 2, v13                              // 000000004698: 241A1A82
	v_and_b32_e32 v28, 15, v0                                  // 00000000469C: 2638008F
	v_and_b32_e32 v30, 1, v28                                  // 0000000046A0: 263C3881
	v_mul_i32_i24_e32 v12, 0x108, v30                          // 0000000046A4: 0C183CFF 00000108
	v_and_b32_e32 v30, 2, v28                                  // 0000000046AC: 263C3882
	v_lshlrev_b32_e32 v30, 1, v30                              // 0000000046B0: 243C3C81
	v_add_u32_e32 v12, v30, v12                                // 0000000046B4: 6818191E
	v_and_b32_e32 v30, 4, v28                                  // 0000000046B8: 263C3884
	v_lshlrev_b32_e32 v30, 2, v30                              // 0000000046BC: 243C3C82
	v_add_u32_e32 v12, v30, v12                                // 0000000046C0: 6818191E
	v_and_b32_e32 v30, 8, v28                                  // 0000000046C4: 263C3888
	v_add_u32_e32 v12, v30, v12                                // 0000000046C8: 6818191E
	v_lshrrev_b32_e32 v28, 4, v0                               // 0000000046CC: 20380084
	v_and_b32_e32 v30, 1, v28                                  // 0000000046D0: 263C3881
	v_lshlrev_b32_e32 v30, 5, v30                              // 0000000046D4: 243C3C85
	v_add_u32_e32 v12, v30, v12                                // 0000000046D8: 6818191E
	v_and_b32_e32 v29, 2, v28                                  // 0000000046DC: 263A3882
	v_mul_i32_i24_e32 v30, 32, v29                             // 0000000046E0: 0C3C3AA0
	v_mul_i32_i24_e32 v29, 0x220, v29                          // 0000000046E4: 0C3A3AFF 00000220
	v_add_u32_e32 v23, v29, v12                                // 0000000046EC: 682E191D
	v_add_u32_e32 v12, v30, v12                                // 0000000046F0: 6818191E
	v_lshlrev_b32_e32 v12, 2, v12                              // 0000000046F4: 24181882
	v_lshlrev_b32_e32 v23, 2, v23                              // 0000000046F8: 242E2E82
	s_and_b32 s60, 1, s46                                      // 0000000046FC: 863C2E81
	s_mul_i32 s60, s60, 0x200                                  // 000000004700: 923CFF3C 00000200
	s_lshr_b32 s61, s46, 1                                     // 000000004708: 8F3D812E
	s_mul_i32 s61, s61, 0x880                                  // 00000000470C: 923DFF3D 00000880
	s_add_u32 s60, s60, s61                                    // 000000004714: 803C3D3C
	v_add_u32_e32 v23, s60, v23                                // 000000004718: 682E2E3C
	v_lshrrev_b32_e32 v28, 4, v0                               // 00000000471C: 20380084
	v_mul_i32_i24_e32 v21, 4, v28                              // 000000004720: 0C2A3884
	v_and_b32_e32 v29, 3, v0                                   // 000000004724: 263A0083
	v_add_u32_e32 v21, v29, v21                                // 000000004728: 682A2B1D
	v_lshlrev_b32_e32 v21, 2, v21                              // 00000000472C: 242A2A82
	v_lshrrev_b32_e32 v28, 4, v0                               // 000000004730: 20380084
	v_and_b32_e32 v29, 1, v28                                  // 000000004734: 263A3881
	v_mul_i32_i24_e32 v19, 0x100, v29                          // 000000004738: 0C263AFF 00000100
	v_and_b32_e32 v29, 2, v28                                  // 000000004740: 263A3882
	v_mul_i32_i24_e32 v29, 64, v29                             // 000000004744: 0C3A3AC0
	v_add_u32_e32 v19, v29, v19                                // 000000004748: 6826271D
	v_and_b32_e32 v28, 15, v0                                  // 00000000474C: 2638008F
	v_mul_i32_i24_e32 v29, 2, v28                              // 000000004750: 0C3A3882
	v_add_u32_e32 v19, v29, v19                                // 000000004754: 6826271D
	s_mul_i32 s60, s46, 32                                     // 000000004758: 923CA02E
	v_add_u32_e32 v19, s60, v19                                // 00000000475C: 6826263C
	v_lshlrev_b32_e32 v19, 2, v19                              // 000000004760: 24262682
	v_lshlrev_b32_e32 v20, 1, v0                               // 000000004764: 24280081
	s_mul_i32 s60, s46, 0x200                                  // 000000004768: 923CFF2E 00000200
	v_add_u32_e32 v20, s60, v20                                // 000000004770: 6828283C
	v_lshlrev_b32_e32 v20, 2, v20                              // 000000004774: 24282882
	v_lshrrev_b32_e32 v28, 5, v0                               // 000000004778: 20380085
	v_mul_i32_i24_e32 v17, 64, v28                             // 00000000477C: 0C2238C0
	v_and_b32_e32 v28, 31, v0                                  // 000000004780: 2638009F
	v_and_b32_e32 v28, 3, v28                                  // 000000004784: 26383883
	v_and_b32_e32 v29, 1, v28                                  // 000000004788: 263A3881
	v_mul_i32_i24_e32 v29, 4, v29                              // 00000000478C: 0C3A3A84
	v_add_u32_e32 v17, v29, v17                                // 000000004790: 6822231D
	v_and_b32_e32 v29, 2, v28                                  // 000000004794: 263A3882
	v_mul_i32_i24_e32 v29, 0x44, v29                           // 000000004798: 0C3A3AFF 00000044
	v_add_u32_e32 v17, v29, v17                                // 0000000047A0: 6822231D
	v_and_b32_e32 v28, 31, v0                                  // 0000000047A4: 2638009F
	v_lshrrev_b32_e32 v28, 2, v28                              // 0000000047A8: 20383882
	v_lshrrev_b32_e32 v30, 2, v28                              // 0000000047AC: 203C3882
	v_mul_i32_i24_e32 v29, 16, v30                             // 0000000047B0: 0C3A3C90
	v_add_u32_e32 v17, v29, v17                                // 0000000047B4: 6822231D
	v_and_b32_e32 v29, 2, v28                                  // 0000000047B8: 263A3882
	v_lshlrev_b32_e32 v29, 4, v29                              // 0000000047BC: 243A3A84
	v_add_u32_e32 v17, v29, v17                                // 0000000047C0: 6822231D
	v_and_b32_e32 v29, 1, v28                                  // 0000000047C4: 263A3881
	v_xor_b32_e32 v29, v30, v29                                // 0000000047C8: 2A3A3B1E
	v_mul_i32_i24_e32 v29, 8, v29                              // 0000000047CC: 0C3A3A88
	v_add_u32_e32 v17, v29, v17                                // 0000000047D0: 6822231D
	v_lshlrev_b32_e32 v17, 2, v17                              // 0000000047D4: 24222282
	v_lshrrev_b32_e32 v28, 5, v0                               // 0000000047D8: 20380085
	v_mul_i32_i24_e32 v18, 32, v28                             // 0000000047DC: 0C2438A0
	v_and_b32_e32 v28, 31, v0                                  // 0000000047E0: 2638009F
	v_and_b32_e32 v28, 3, v28                                  // 0000000047E4: 26383883
	v_and_b32_e32 v29, 1, v28                                  // 0000000047E8: 263A3881
	v_mul_i32_i24_e32 v29, 4, v29                              // 0000000047EC: 0C3A3A84
	v_add_u32_e32 v18, v29, v18                                // 0000000047F0: 6824251D
	v_and_b32_e32 v29, 2, v28                                  // 0000000047F4: 263A3882
	v_lshrrev_b32_e32 v29, 1, v29                              // 0000000047F8: 203A3A81
	v_add_u32_e32 v18, v29, v18                                // 0000000047FC: 6824251D
	v_and_b32_e32 v28, 31, v0                                  // 000000004800: 2638009F
	v_lshrrev_b32_e32 v28, 2, v28                              // 000000004804: 20383882
	v_and_b32_e32 v30, 1, v28                                  // 000000004808: 263C3881
	v_mul_i32_i24_e32 v29, 16, v30                             // 00000000480C: 0C3A3C90
	v_add_u32_e32 v18, v29, v18                                // 000000004810: 6824251D
	v_and_b32_e32 v29, 2, v28                                  // 000000004814: 263A3882
	v_add_u32_e32 v18, v29, v18                                // 000000004818: 6824251D
	v_lshrrev_b32_e32 v29, 2, v28                              // 00000000481C: 203A3882
	v_xor_b32_e32 v29, v30, v29                                // 000000004820: 2A3A3B1E
	v_mul_i32_i24_e32 v29, 8, v29                              // 000000004824: 0C3A3A88
	v_add_u32_e32 v18, v29, v18                                // 000000004828: 6824251D
	s_and_b32 s60, 1, s46                                      // 00000000482C: 863C2E81
	s_mul_i32 s60, s60, 64                                     // 000000004830: 923CC03C
	s_lshr_b32 s61, s46, 1                                     // 000000004834: 8F3D812E
	s_mul_i32 s61, s61, 0x120                                  // 000000004838: 923DFF3D 00000120
	s_add_u32 s60, s60, s61                                    // 000000004840: 803C3D3C
	v_add_u32_e32 v18, s60, v18                                // 000000004844: 6824243C
	v_lshlrev_b32_e32 v18, 2, v18                              // 000000004848: 24242482
	v_mov_b32_e32 v152, 0                                      // 00000000484C: 7F300280
	s_mov_b64 exec, s[76:77]                                   // 000000004850: BEFE014C
	buffer_load_dword v152, v1, s[12:15], 0 idxen              // 000000004854: E0502000 80039801
	s_mov_b64 exec, s[84:85]                                   // 00000000485C: BEFE0154
	v_mov_b32_e32 v153, 0                                      // 000000004860: 7F320280
	s_mov_b64 exec, s[76:77]                                   // 000000004864: BEFE014C
	buffer_load_dword v153, v2, s[12:15], 0 idxen              // 000000004868: E0502000 80039902
	s_mov_b64 exec, s[84:85]                                   // 000000004870: BEFE0154
	v_mov_b32_e32 v154, 0                                      // 000000004874: 7F340280
	s_mov_b64 exec, s[76:77]                                   // 000000004878: BEFE014C
	buffer_load_dword v154, v3, s[12:15], 0 idxen              // 00000000487C: E0502000 80039A03
	s_mov_b64 exec, s[84:85]                                   // 000000004884: BEFE0154
	v_mov_b32_e32 v155, 0                                      // 000000004888: 7F360280
	s_mov_b64 exec, s[76:77]                                   // 00000000488C: BEFE014C
	buffer_load_dword v155, v4, s[12:15], 0 idxen              // 000000004890: E0502000 80039B04
	s_mov_b64 exec, s[84:85]                                   // 000000004898: BEFE0154
	s_mul_i32 s60, 4, s6                                       // 00000000489C: 923C0684
	s_cmp_lt_i32 0, s73                                        // 0000000048A0: BF044980
	s_cselect_b32 s60, s60, 0                                  // 0000000048A4: 853C803C
	v_add_u32_e32 v1, s60, v1                                  // 0000000048A8: 6802023C
	v_add_u32_e32 v2, s60, v2                                  // 0000000048AC: 6804043C
	v_add_u32_e32 v3, s60, v3                                  // 0000000048B0: 6806063C
	v_add_u32_e32 v4, s60, v4                                  // 0000000048B4: 6808083C
	v_mov_b32_e32 v156, 0                                      // 0000000048B8: 7F380280
	s_mov_b64 exec, s[76:77]                                   // 0000000048BC: BEFE014C
	buffer_load_dword v156, v1, s[12:15], 0 idxen              // 0000000048C0: E0502000 80039C01
	s_mov_b64 exec, s[84:85]                                   // 0000000048C8: BEFE0154
	v_mov_b32_e32 v157, 0                                      // 0000000048CC: 7F3A0280
	s_mov_b64 exec, s[76:77]                                   // 0000000048D0: BEFE014C
	buffer_load_dword v157, v2, s[12:15], 0 idxen              // 0000000048D4: E0502000 80039D02
	s_mov_b64 exec, s[84:85]                                   // 0000000048DC: BEFE0154
	v_mov_b32_e32 v158, 0                                      // 0000000048E0: 7F3C0280
	s_mov_b64 exec, s[76:77]                                   // 0000000048E4: BEFE014C
	buffer_load_dword v158, v3, s[12:15], 0 idxen              // 0000000048E8: E0502000 80039E03
	s_mov_b64 exec, s[84:85]                                   // 0000000048F0: BEFE0154
	v_mov_b32_e32 v159, 0                                      // 0000000048F4: 7F3E0280
	s_mov_b64 exec, s[76:77]                                   // 0000000048F8: BEFE014C
	buffer_load_dword v159, v4, s[12:15], 0 idxen              // 0000000048FC: E0502000 80039F04
	s_mov_b64 exec, s[84:85]                                   // 000000004904: BEFE0154
	s_mul_i32 s60, 4, s6                                       // 000000004908: 923C0684
	s_cmp_lt_i32 0, s73                                        // 00000000490C: BF044980
	s_cselect_b32 s60, s60, 0                                  // 000000004910: 853C803C
	v_add_u32_e32 v1, s60, v1                                  // 000000004914: 6802023C
	v_add_u32_e32 v2, s60, v2                                  // 000000004918: 6804043C
	v_add_u32_e32 v3, s60, v3                                  // 00000000491C: 6806063C
	v_add_u32_e32 v4, s60, v4                                  // 000000004920: 6808083C
	v_mov_b32_e32 v160, 0                                      // 000000004924: 7F400280
	s_mov_b64 exec, s[76:77]                                   // 000000004928: BEFE014C
	buffer_load_dword v160, v1, s[12:15], 0 idxen              // 00000000492C: E0502000 8003A001
	s_mov_b64 exec, s[84:85]                                   // 000000004934: BEFE0154
	v_mov_b32_e32 v161, 0                                      // 000000004938: 7F420280
	s_mov_b64 exec, s[76:77]                                   // 00000000493C: BEFE014C
	buffer_load_dword v161, v2, s[12:15], 0 idxen              // 000000004940: E0502000 8003A102
	s_mov_b64 exec, s[84:85]                                   // 000000004948: BEFE0154
	v_mov_b32_e32 v162, 0                                      // 00000000494C: 7F440280
	s_mov_b64 exec, s[76:77]                                   // 000000004950: BEFE014C
	buffer_load_dword v162, v3, s[12:15], 0 idxen              // 000000004954: E0502000 8003A203
	s_mov_b64 exec, s[84:85]                                   // 00000000495C: BEFE0154
	v_mov_b32_e32 v163, 0                                      // 000000004960: 7F460280
	s_mov_b64 exec, s[76:77]                                   // 000000004964: BEFE014C
	buffer_load_dword v163, v4, s[12:15], 0 idxen              // 000000004968: E0502000 8003A304
	s_mov_b64 exec, s[84:85]                                   // 000000004970: BEFE0154
	s_mul_i32 s60, 4, s6                                       // 000000004974: 923C0684
	s_cmp_lt_i32 0, s73                                        // 000000004978: BF044980
	s_cselect_b32 s60, s60, 0                                  // 00000000497C: 853C803C
	v_add_u32_e32 v1, s60, v1                                  // 000000004980: 6802023C
	v_add_u32_e32 v2, s60, v2                                  // 000000004984: 6804043C
	v_add_u32_e32 v3, s60, v3                                  // 000000004988: 6806063C
	v_add_u32_e32 v4, s60, v4                                  // 00000000498C: 6808083C
	v_mov_b32_e32 v164, 0                                      // 000000004990: 7F480280
	s_mov_b64 exec, s[76:77]                                   // 000000004994: BEFE014C
	buffer_load_dword v164, v1, s[12:15], 0 idxen              // 000000004998: E0502000 8003A401
	s_mov_b64 exec, s[84:85]                                   // 0000000049A0: BEFE0154
	v_mov_b32_e32 v165, 0                                      // 0000000049A4: 7F4A0280
	s_mov_b64 exec, s[76:77]                                   // 0000000049A8: BEFE014C
	buffer_load_dword v165, v2, s[12:15], 0 idxen              // 0000000049AC: E0502000 8003A502
	s_mov_b64 exec, s[84:85]                                   // 0000000049B4: BEFE0154
	v_mov_b32_e32 v166, 0                                      // 0000000049B8: 7F4C0280
	s_mov_b64 exec, s[76:77]                                   // 0000000049BC: BEFE014C
	buffer_load_dword v166, v3, s[12:15], 0 idxen              // 0000000049C0: E0502000 8003A603
	s_mov_b64 exec, s[84:85]                                   // 0000000049C8: BEFE0154
	v_mov_b32_e32 v167, 0                                      // 0000000049CC: 7F4E0280
	s_mov_b64 exec, s[76:77]                                   // 0000000049D0: BEFE014C
	buffer_load_dword v167, v4, s[12:15], 0 idxen              // 0000000049D4: E0502000 8003A704
	s_mov_b64 exec, s[84:85]                                   // 0000000049DC: BEFE0154
	s_mul_i32 s60, 4, s6                                       // 0000000049E0: 923C0684
	s_cmp_lt_i32 1, s73                                        // 0000000049E4: BF044981
	s_cselect_b32 s60, s60, 0                                  // 0000000049E8: 853C803C
	v_add_u32_e32 v1, s60, v1                                  // 0000000049EC: 6802023C
	v_add_u32_e32 v2, s60, v2                                  // 0000000049F0: 6804043C
	v_add_u32_e32 v3, s60, v3                                  // 0000000049F4: 6806063C
	v_add_u32_e32 v4, s60, v4                                  // 0000000049F8: 6808083C
	v_mov_b32_e32 v168, 0                                      // 0000000049FC: 7F500280
	s_mov_b64 exec, s[76:77]                                   // 000000004A00: BEFE014C
	buffer_load_dword v168, v1, s[12:15], 0 idxen              // 000000004A04: E0502000 8003A801
	s_mov_b64 exec, s[84:85]                                   // 000000004A0C: BEFE0154
	v_mov_b32_e32 v169, 0                                      // 000000004A10: 7F520280
	s_mov_b64 exec, s[76:77]                                   // 000000004A14: BEFE014C
	buffer_load_dword v169, v2, s[12:15], 0 idxen              // 000000004A18: E0502000 8003A902
	s_mov_b64 exec, s[84:85]                                   // 000000004A20: BEFE0154
	v_mov_b32_e32 v170, 0                                      // 000000004A24: 7F540280
	s_mov_b64 exec, s[76:77]                                   // 000000004A28: BEFE014C
	buffer_load_dword v170, v3, s[12:15], 0 idxen              // 000000004A2C: E0502000 8003AA03
	s_mov_b64 exec, s[84:85]                                   // 000000004A34: BEFE0154
	v_mov_b32_e32 v171, 0                                      // 000000004A38: 7F560280
	s_mov_b64 exec, s[76:77]                                   // 000000004A3C: BEFE014C
	buffer_load_dword v171, v4, s[12:15], 0 idxen              // 000000004A40: E0502000 8003AB04
	s_mov_b64 exec, s[84:85]                                   // 000000004A48: BEFE0154
	s_mul_i32 s60, 4, s6                                       // 000000004A4C: 923C0684
	s_cmp_lt_i32 1, s73                                        // 000000004A50: BF044981
	s_cselect_b32 s60, s60, 0                                  // 000000004A54: 853C803C
	v_add_u32_e32 v1, s60, v1                                  // 000000004A58: 6802023C
	v_add_u32_e32 v2, s60, v2                                  // 000000004A5C: 6804043C
	v_add_u32_e32 v3, s60, v3                                  // 000000004A60: 6806063C
	v_add_u32_e32 v4, s60, v4                                  // 000000004A64: 6808083C
	v_mov_b32_e32 v172, 0                                      // 000000004A68: 7F580280
	s_mov_b64 exec, s[76:77]                                   // 000000004A6C: BEFE014C
	buffer_load_dword v172, v1, s[12:15], 0 idxen              // 000000004A70: E0502000 8003AC01
	s_mov_b64 exec, s[84:85]                                   // 000000004A78: BEFE0154
	v_mov_b32_e32 v173, 0                                      // 000000004A7C: 7F5A0280
	s_mov_b64 exec, s[76:77]                                   // 000000004A80: BEFE014C
	buffer_load_dword v173, v2, s[12:15], 0 idxen              // 000000004A84: E0502000 8003AD02
	s_mov_b64 exec, s[84:85]                                   // 000000004A8C: BEFE0154
	v_mov_b32_e32 v174, 0                                      // 000000004A90: 7F5C0280
	s_mov_b64 exec, s[76:77]                                   // 000000004A94: BEFE014C
	buffer_load_dword v174, v3, s[12:15], 0 idxen              // 000000004A98: E0502000 8003AE03
	s_mov_b64 exec, s[84:85]                                   // 000000004AA0: BEFE0154
	v_mov_b32_e32 v175, 0                                      // 000000004AA4: 7F5E0280
	s_mov_b64 exec, s[76:77]                                   // 000000004AA8: BEFE014C
	buffer_load_dword v175, v4, s[12:15], 0 idxen              // 000000004AAC: E0502000 8003AF04
	s_mov_b64 exec, s[84:85]                                   // 000000004AB4: BEFE0154
	s_mul_i32 s60, 4, s6                                       // 000000004AB8: 923C0684
	s_cmp_lt_i32 1, s73                                        // 000000004ABC: BF044981
	s_cselect_b32 s60, s60, 0                                  // 000000004AC0: 853C803C
	v_add_u32_e32 v1, s60, v1                                  // 000000004AC4: 6802023C
	v_add_u32_e32 v2, s60, v2                                  // 000000004AC8: 6804043C
	v_add_u32_e32 v3, s60, v3                                  // 000000004ACC: 6806063C
	v_add_u32_e32 v4, s60, v4                                  // 000000004AD0: 6808083C
	v_mov_b32_e32 v176, 0                                      // 000000004AD4: 7F600280
	s_mov_b64 exec, s[76:77]                                   // 000000004AD8: BEFE014C
	buffer_load_dword v176, v1, s[12:15], 0 idxen              // 000000004ADC: E0502000 8003B001
	s_mov_b64 exec, s[84:85]                                   // 000000004AE4: BEFE0154
	v_mov_b32_e32 v177, 0                                      // 000000004AE8: 7F620280
	s_mov_b64 exec, s[76:77]                                   // 000000004AEC: BEFE014C
	buffer_load_dword v177, v2, s[12:15], 0 idxen              // 000000004AF0: E0502000 8003B102
	s_mov_b64 exec, s[84:85]                                   // 000000004AF8: BEFE0154
	v_mov_b32_e32 v178, 0                                      // 000000004AFC: 7F640280
	s_mov_b64 exec, s[76:77]                                   // 000000004B00: BEFE014C
	buffer_load_dword v178, v3, s[12:15], 0 idxen              // 000000004B04: E0502000 8003B203
	s_mov_b64 exec, s[84:85]                                   // 000000004B0C: BEFE0154
	v_mov_b32_e32 v179, 0                                      // 000000004B10: 7F660280
	s_mov_b64 exec, s[76:77]                                   // 000000004B14: BEFE014C
	buffer_load_dword v179, v4, s[12:15], 0 idxen              // 000000004B18: E0502000 8003B304
	s_mov_b64 exec, s[84:85]                                   // 000000004B20: BEFE0154
	s_mul_i32 s60, 4, s6                                       // 000000004B24: 923C0684
	s_cmp_lt_i32 1, s73                                        // 000000004B28: BF044981
	s_cselect_b32 s60, s60, 0                                  // 000000004B2C: 853C803C
	v_add_u32_e32 v1, s60, v1                                  // 000000004B30: 6802023C
	v_add_u32_e32 v2, s60, v2                                  // 000000004B34: 6804043C
	v_add_u32_e32 v3, s60, v3                                  // 000000004B38: 6806063C
	v_add_u32_e32 v4, s60, v4                                  // 000000004B3C: 6808083C
	v_mov_b32_e32 v180, 0                                      // 000000004B40: 7F680280
	s_mov_b64 exec, s[76:77]                                   // 000000004B44: BEFE014C
	buffer_load_dword v180, v1, s[12:15], 0 idxen              // 000000004B48: E0502000 8003B401
	s_mov_b64 exec, s[84:85]                                   // 000000004B50: BEFE0154
	v_mov_b32_e32 v181, 0                                      // 000000004B54: 7F6A0280
	s_mov_b64 exec, s[76:77]                                   // 000000004B58: BEFE014C
	buffer_load_dword v181, v2, s[12:15], 0 idxen              // 000000004B5C: E0502000 8003B502
	s_mov_b64 exec, s[84:85]                                   // 000000004B64: BEFE0154
	v_mov_b32_e32 v182, 0                                      // 000000004B68: 7F6C0280
	s_mov_b64 exec, s[76:77]                                   // 000000004B6C: BEFE014C
	buffer_load_dword v182, v3, s[12:15], 0 idxen              // 000000004B70: E0502000 8003B603
	s_mov_b64 exec, s[84:85]                                   // 000000004B78: BEFE0154
	v_mov_b32_e32 v183, 0                                      // 000000004B7C: 7F6E0280
	s_mov_b64 exec, s[76:77]                                   // 000000004B80: BEFE014C
	buffer_load_dword v183, v4, s[12:15], 0 idxen              // 000000004B84: E0502000 8003B704
	s_mov_b64 exec, s[84:85]                                   // 000000004B8C: BEFE0154
	s_mul_i32 s60, 4, s6                                       // 000000004B90: 923C0684
	s_cmp_lt_i32 2, s73                                        // 000000004B94: BF044982
	s_cselect_b32 s60, s60, 0                                  // 000000004B98: 853C803C
	v_add_u32_e32 v1, s60, v1                                  // 000000004B9C: 6802023C
	v_add_u32_e32 v2, s60, v2                                  // 000000004BA0: 6804043C
	v_add_u32_e32 v3, s60, v3                                  // 000000004BA4: 6806063C
	v_add_u32_e32 v4, s60, v4                                  // 000000004BA8: 6808083C
	v_mov_b32_e32 v184, 0                                      // 000000004BAC: 7F700280
	s_mov_b64 exec, s[76:77]                                   // 000000004BB0: BEFE014C
	buffer_load_dword v184, v1, s[12:15], 0 idxen              // 000000004BB4: E0502000 8003B801
	s_mov_b64 exec, s[84:85]                                   // 000000004BBC: BEFE0154
	v_mov_b32_e32 v185, 0                                      // 000000004BC0: 7F720280
	s_mov_b64 exec, s[76:77]                                   // 000000004BC4: BEFE014C
	buffer_load_dword v185, v2, s[12:15], 0 idxen              // 000000004BC8: E0502000 8003B902
	s_mov_b64 exec, s[84:85]                                   // 000000004BD0: BEFE0154
	v_mov_b32_e32 v186, 0                                      // 000000004BD4: 7F740280
	s_mov_b64 exec, s[76:77]                                   // 000000004BD8: BEFE014C
	buffer_load_dword v186, v3, s[12:15], 0 idxen              // 000000004BDC: E0502000 8003BA03
	s_mov_b64 exec, s[84:85]                                   // 000000004BE4: BEFE0154
	v_mov_b32_e32 v187, 0                                      // 000000004BE8: 7F760280
	s_mov_b64 exec, s[76:77]                                   // 000000004BEC: BEFE014C
	buffer_load_dword v187, v4, s[12:15], 0 idxen              // 000000004BF0: E0502000 8003BB04
	s_mov_b64 exec, s[84:85]                                   // 000000004BF8: BEFE0154
	s_mul_i32 s60, 4, s6                                       // 000000004BFC: 923C0684
	s_cmp_lt_i32 2, s73                                        // 000000004C00: BF044982
	s_cselect_b32 s60, s60, 0                                  // 000000004C04: 853C803C
	v_add_u32_e32 v1, s60, v1                                  // 000000004C08: 6802023C
	v_add_u32_e32 v2, s60, v2                                  // 000000004C0C: 6804043C
	v_add_u32_e32 v3, s60, v3                                  // 000000004C10: 6806063C
	v_add_u32_e32 v4, s60, v4                                  // 000000004C14: 6808083C
	v_mov_b32_e32 v188, 0                                      // 000000004C18: 7F780280
	s_mov_b64 exec, s[76:77]                                   // 000000004C1C: BEFE014C
	buffer_load_dword v188, v1, s[12:15], 0 idxen              // 000000004C20: E0502000 8003BC01
	s_mov_b64 exec, s[84:85]                                   // 000000004C28: BEFE0154
	v_mov_b32_e32 v189, 0                                      // 000000004C2C: 7F7A0280
	s_mov_b64 exec, s[76:77]                                   // 000000004C30: BEFE014C
	buffer_load_dword v189, v2, s[12:15], 0 idxen              // 000000004C34: E0502000 8003BD02
	s_mov_b64 exec, s[84:85]                                   // 000000004C3C: BEFE0154
	v_mov_b32_e32 v190, 0                                      // 000000004C40: 7F7C0280
	s_mov_b64 exec, s[76:77]                                   // 000000004C44: BEFE014C
	buffer_load_dword v190, v3, s[12:15], 0 idxen              // 000000004C48: E0502000 8003BE03
	s_mov_b64 exec, s[84:85]                                   // 000000004C50: BEFE0154
	v_mov_b32_e32 v191, 0                                      // 000000004C54: 7F7E0280
	s_mov_b64 exec, s[76:77]                                   // 000000004C58: BEFE014C
	buffer_load_dword v191, v4, s[12:15], 0 idxen              // 000000004C5C: E0502000 8003BF04
	s_mov_b64 exec, s[84:85]                                   // 000000004C64: BEFE0154
	s_mul_i32 s60, 4, s6                                       // 000000004C68: 923C0684
	s_cmp_lt_i32 2, s73                                        // 000000004C6C: BF044982
	s_cselect_b32 s60, s60, 0                                  // 000000004C70: 853C803C
	v_add_u32_e32 v1, s60, v1                                  // 000000004C74: 6802023C
	v_add_u32_e32 v2, s60, v2                                  // 000000004C78: 6804043C
	v_add_u32_e32 v3, s60, v3                                  // 000000004C7C: 6806063C
	v_add_u32_e32 v4, s60, v4                                  // 000000004C80: 6808083C
	v_mov_b32_e32 v192, 0                                      // 000000004C84: 7F800280
	s_mov_b64 exec, s[76:77]                                   // 000000004C88: BEFE014C
	buffer_load_dword v192, v1, s[12:15], 0 idxen              // 000000004C8C: E0502000 8003C001
	s_mov_b64 exec, s[84:85]                                   // 000000004C94: BEFE0154
	v_mov_b32_e32 v193, 0                                      // 000000004C98: 7F820280
	s_mov_b64 exec, s[76:77]                                   // 000000004C9C: BEFE014C
	buffer_load_dword v193, v2, s[12:15], 0 idxen              // 000000004CA0: E0502000 8003C102
	s_mov_b64 exec, s[84:85]                                   // 000000004CA8: BEFE0154
	v_mov_b32_e32 v194, 0                                      // 000000004CAC: 7F840280
	s_mov_b64 exec, s[76:77]                                   // 000000004CB0: BEFE014C
	buffer_load_dword v194, v3, s[12:15], 0 idxen              // 000000004CB4: E0502000 8003C203
	s_mov_b64 exec, s[84:85]                                   // 000000004CBC: BEFE0154
	v_mov_b32_e32 v195, 0                                      // 000000004CC0: 7F860280
	s_mov_b64 exec, s[76:77]                                   // 000000004CC4: BEFE014C
	buffer_load_dword v195, v4, s[12:15], 0 idxen              // 000000004CC8: E0502000 8003C304
	s_mov_b64 exec, s[84:85]                                   // 000000004CD0: BEFE0154
	s_mul_i32 s60, 4, s6                                       // 000000004CD4: 923C0684
	s_cmp_lt_i32 2, s73                                        // 000000004CD8: BF044982
	s_cselect_b32 s60, s60, 0                                  // 000000004CDC: 853C803C
	v_add_u32_e32 v1, s60, v1                                  // 000000004CE0: 6802023C
	v_add_u32_e32 v2, s60, v2                                  // 000000004CE4: 6804043C
	v_add_u32_e32 v3, s60, v3                                  // 000000004CE8: 6806063C
	v_add_u32_e32 v4, s60, v4                                  // 000000004CEC: 6808083C
	v_mov_b32_e32 v196, 0                                      // 000000004CF0: 7F880280
	s_mov_b64 exec, s[76:77]                                   // 000000004CF4: BEFE014C
	buffer_load_dword v196, v1, s[12:15], 0 idxen              // 000000004CF8: E0502000 8003C401
	s_mov_b64 exec, s[84:85]                                   // 000000004D00: BEFE0154
	v_mov_b32_e32 v197, 0                                      // 000000004D04: 7F8A0280
	s_mov_b64 exec, s[76:77]                                   // 000000004D08: BEFE014C
	buffer_load_dword v197, v2, s[12:15], 0 idxen              // 000000004D0C: E0502000 8003C502
	s_mov_b64 exec, s[84:85]                                   // 000000004D14: BEFE0154
	v_mov_b32_e32 v198, 0                                      // 000000004D18: 7F8C0280
	s_mov_b64 exec, s[76:77]                                   // 000000004D1C: BEFE014C
	buffer_load_dword v198, v3, s[12:15], 0 idxen              // 000000004D20: E0502000 8003C603
	s_mov_b64 exec, s[84:85]                                   // 000000004D28: BEFE0154
	v_mov_b32_e32 v199, 0                                      // 000000004D2C: 7F8E0280
	s_mov_b64 exec, s[76:77]                                   // 000000004D30: BEFE014C
	buffer_load_dword v199, v4, s[12:15], 0 idxen              // 000000004D34: E0502000 8003C704
	s_mov_b64 exec, s[84:85]                                   // 000000004D3C: BEFE0154
	s_mul_i32 s60, 4, s6                                       // 000000004D40: 923C0684
	s_cmp_lt_i32 3, s73                                        // 000000004D44: BF044983
	s_cselect_b32 s60, s60, 0                                  // 000000004D48: 853C803C
	v_add_u32_e32 v1, s60, v1                                  // 000000004D4C: 6802023C
	v_add_u32_e32 v2, s60, v2                                  // 000000004D50: 6804043C
	v_add_u32_e32 v3, s60, v3                                  // 000000004D54: 6806063C
	v_add_u32_e32 v4, s60, v4                                  // 000000004D58: 6808083C
	s_waitcnt vmcnt(32) lgkmcnt(0)                             // 000000004D5C: BF8C8070
	s_barrier                                                  // 000000004D60: BF8A0000
	s_cmp_lt_i32 0, s73                                        // 000000004D64: BF044980
	s_cbranch_scc1 label_03EB                                  // 000000004D68: BF850010
	v_mov_b32_e32 v152, 0                                      // 000000004D6C: 7F300280
	v_mov_b32_e32 v153, 0                                      // 000000004D70: 7F320280
	v_mov_b32_e32 v154, 0                                      // 000000004D74: 7F340280
	v_mov_b32_e32 v155, 0                                      // 000000004D78: 7F360280
	v_mov_b32_e32 v156, 0                                      // 000000004D7C: 7F380280
	v_mov_b32_e32 v157, 0                                      // 000000004D80: 7F3A0280
	v_mov_b32_e32 v158, 0                                      // 000000004D84: 7F3C0280
	v_mov_b32_e32 v159, 0                                      // 000000004D88: 7F3E0280
	v_mov_b32_e32 v160, 0                                      // 000000004D8C: 7F400280
	v_mov_b32_e32 v161, 0                                      // 000000004D90: 7F420280
	v_mov_b32_e32 v162, 0                                      // 000000004D94: 7F440280
	v_mov_b32_e32 v163, 0                                      // 000000004D98: 7F460280
	v_mov_b32_e32 v164, 0                                      // 000000004D9C: 7F480280
	v_mov_b32_e32 v165, 0                                      // 000000004DA0: 7F4A0280
	v_mov_b32_e32 v166, 0                                      // 000000004DA4: 7F4C0280
	v_mov_b32_e32 v167, 0                                      // 000000004DA8: 7F4E0280

0000000000004dac <label_03EB>:
	v_perm_b32 v200, v153, v152, s63                           // 000000004DAC: D1ED00C8 00FF3199
	v_perm_b32 v201, v153, v152, s64                           // 000000004DB4: D1ED00C9 01033199
	v_perm_b32 v202, v155, v154, s63                           // 000000004DBC: D1ED00CA 00FF359B
	v_perm_b32 v203, v155, v154, s64                           // 000000004DC4: D1ED00CB 0103359B
	v_perm_b32 v204, v157, v156, s63                           // 000000004DCC: D1ED00CC 00FF399D
	v_perm_b32 v205, v157, v156, s64                           // 000000004DD4: D1ED00CD 0103399D
	v_perm_b32 v206, v159, v158, s63                           // 000000004DDC: D1ED00CE 00FF3D9F
	v_perm_b32 v207, v159, v158, s64                           // 000000004DE4: D1ED00CF 01033D9F
	v_perm_b32 v208, v161, v160, s63                           // 000000004DEC: D1ED00D0 00FF41A1
	v_perm_b32 v209, v161, v160, s64                           // 000000004DF4: D1ED00D1 010341A1
	v_perm_b32 v210, v163, v162, s63                           // 000000004DFC: D1ED00D2 00FF45A3
	v_perm_b32 v211, v163, v162, s64                           // 000000004E04: D1ED00D3 010345A3
	v_perm_b32 v212, v165, v164, s63                           // 000000004E0C: D1ED00D4 00FF49A5
	v_perm_b32 v213, v165, v164, s64                           // 000000004E14: D1ED00D5 010349A5
	v_perm_b32 v214, v167, v166, s63                           // 000000004E1C: D1ED00D6 00FF4DA7
	v_perm_b32 v215, v167, v166, s64                           // 000000004E24: D1ED00D7 01034DA7
	ds_write_b32 v13, v200 offset:17408                        // 000000004E2C: D81A4400 0000C80D
	ds_write_b32 v13, v201 offset:18464                        // 000000004E34: D81A4820 0000C90D
	ds_write_b32 v13, v202 offset:17536                        // 000000004E3C: D81A4480 0000CA0D
	ds_write_b32 v13, v203 offset:18592                        // 000000004E44: D81A48A0 0000CB0D
	ds_write_b32 v13, v204 offset:21760                        // 000000004E4C: D81A5500 0000CC0D
	ds_write_b32 v13, v205 offset:22816                        // 000000004E54: D81A5920 0000CD0D
	ds_write_b32 v13, v206 offset:21888                        // 000000004E5C: D81A5580 0000CE0D
	ds_write_b32 v13, v207 offset:22944                        // 000000004E64: D81A59A0 0000CF0D
	ds_write_b32 v13, v208 offset:26112                        // 000000004E6C: D81A6600 0000D00D
	ds_write_b32 v13, v209 offset:27168                        // 000000004E74: D81A6A20 0000D10D
	ds_write_b32 v13, v210 offset:26240                        // 000000004E7C: D81A6680 0000D20D
	ds_write_b32 v13, v211 offset:27296                        // 000000004E84: D81A6AA0 0000D30D
	ds_write_b32 v13, v212 offset:30464                        // 000000004E8C: D81A7700 0000D40D
	ds_write_b32 v13, v213 offset:31520                        // 000000004E94: D81A7B20 0000D50D
	ds_write_b32 v13, v214 offset:30592                        // 000000004E9C: D81A7780 0000D60D
	ds_write_b32 v13, v215 offset:31648                        // 000000004EA4: D81A7BA0 0000D70D
	ds_write_b32 v11, v152                                     // 000000004EAC: D81A0000 0000980B
	ds_write_b32 v11, v153 offset:1056                         // 000000004EB4: D81A0420 0000990B
	ds_write_b32 v11, v154 offset:128                          // 000000004EBC: D81A0080 00009A0B
	ds_write_b32 v11, v155 offset:1184                         // 000000004EC4: D81A04A0 00009B0B
	ds_write_b32 v11, v156 offset:4352                         // 000000004ECC: D81A1100 00009C0B
	ds_write_b32 v11, v157 offset:5408                         // 000000004ED4: D81A1520 00009D0B
	ds_write_b32 v11, v158 offset:4480                         // 000000004EDC: D81A1180 00009E0B
	ds_write_b32 v11, v159 offset:5536                         // 000000004EE4: D81A15A0 00009F0B
	ds_write_b32 v11, v160 offset:8704                         // 000000004EEC: D81A2200 0000A00B
	ds_write_b32 v11, v161 offset:9760                         // 000000004EF4: D81A2620 0000A10B
	ds_write_b32 v11, v162 offset:8832                         // 000000004EFC: D81A2280 0000A20B
	ds_write_b32 v11, v163 offset:9888                         // 000000004F04: D81A26A0 0000A30B
	ds_write_b32 v11, v164 offset:13056                        // 000000004F0C: D81A3300 0000A40B
	ds_write_b32 v11, v165 offset:14112                        // 000000004F14: D81A3720 0000A50B
	ds_write_b32 v11, v166 offset:13184                        // 000000004F1C: D81A3380 0000A60B
	ds_write_b32 v11, v167 offset:14240                        // 000000004F24: D81A37A0 0000A70B
	v_mov_b32_e32 v152, 0                                      // 000000004F2C: 7F300280
	s_mov_b64 exec, s[76:77]                                   // 000000004F30: BEFE014C
	buffer_load_dword v152, v248, s[16:19], 0 idxen            // 000000004F34: E0502000 800498F8
	s_mov_b64 exec, s[84:85]                                   // 000000004F3C: BEFE0154
	v_mov_b32_e32 v153, 0                                      // 000000004F40: 7F320280
	s_mov_b64 exec, s[76:77]                                   // 000000004F44: BEFE014C
	buffer_load_dword v153, v249, s[16:19], 0 idxen            // 000000004F48: E0502000 800499F9
	s_mov_b64 exec, s[84:85]                                   // 000000004F50: BEFE0154
	v_mov_b32_e32 v154, 0                                      // 000000004F54: 7F340280
	s_mov_b64 exec, s[76:77]                                   // 000000004F58: BEFE014C
	buffer_load_dword v154, v250, s[16:19], 0 idxen            // 000000004F5C: E0502000 80049AFA
	s_mov_b64 exec, s[84:85]                                   // 000000004F64: BEFE0154
	v_mov_b32_e32 v155, 0                                      // 000000004F68: 7F360280
	s_mov_b64 exec, s[76:77]                                   // 000000004F6C: BEFE014C
	buffer_load_dword v155, v251, s[16:19], 0 idxen            // 000000004F70: E0502000 80049BFB
	s_mov_b64 exec, s[84:85]                                   // 000000004F78: BEFE0154
	s_mul_i32 s60, 4, s7                                       // 000000004F7C: 923C0784
	s_cmp_lt_i32 0, s73                                        // 000000004F80: BF044980
	s_cselect_b32 s60, s60, 0                                  // 000000004F84: 853C803C
	v_add_u32_e32 v248, s60, v248                              // 000000004F88: 69F1F03C
	v_add_u32_e32 v249, s60, v249                              // 000000004F8C: 69F3F23C
	v_add_u32_e32 v250, s60, v250                              // 000000004F90: 69F5F43C
	v_add_u32_e32 v251, s60, v251                              // 000000004F94: 69F7F63C
	v_mov_b32_e32 v156, 0                                      // 000000004F98: 7F380280
	s_mov_b64 exec, s[76:77]                                   // 000000004F9C: BEFE014C
	buffer_load_dword v156, v248, s[16:19], 0 idxen            // 000000004FA0: E0502000 80049CF8
	s_mov_b64 exec, s[84:85]                                   // 000000004FA8: BEFE0154
	v_mov_b32_e32 v157, 0                                      // 000000004FAC: 7F3A0280
	s_mov_b64 exec, s[76:77]                                   // 000000004FB0: BEFE014C
	buffer_load_dword v157, v249, s[16:19], 0 idxen            // 000000004FB4: E0502000 80049DF9
	s_mov_b64 exec, s[84:85]                                   // 000000004FBC: BEFE0154
	v_mov_b32_e32 v158, 0                                      // 000000004FC0: 7F3C0280
	s_mov_b64 exec, s[76:77]                                   // 000000004FC4: BEFE014C
	buffer_load_dword v158, v250, s[16:19], 0 idxen            // 000000004FC8: E0502000 80049EFA
	s_mov_b64 exec, s[84:85]                                   // 000000004FD0: BEFE0154
	v_mov_b32_e32 v159, 0                                      // 000000004FD4: 7F3E0280
	s_mov_b64 exec, s[76:77]                                   // 000000004FD8: BEFE014C
	buffer_load_dword v159, v251, s[16:19], 0 idxen            // 000000004FDC: E0502000 80049FFB
	s_mov_b64 exec, s[84:85]                                   // 000000004FE4: BEFE0154
	s_mul_i32 s60, 4, s7                                       // 000000004FE8: 923C0784
	s_cmp_lt_i32 0, s73                                        // 000000004FEC: BF044980
	s_cselect_b32 s60, s60, 0                                  // 000000004FF0: 853C803C
	v_add_u32_e32 v248, s60, v248                              // 000000004FF4: 69F1F03C
	v_add_u32_e32 v249, s60, v249                              // 000000004FF8: 69F3F23C
	v_add_u32_e32 v250, s60, v250                              // 000000004FFC: 69F5F43C
	v_add_u32_e32 v251, s60, v251                              // 000000005000: 69F7F63C
	v_mov_b32_e32 v160, 0                                      // 000000005004: 7F400280
	s_mov_b64 exec, s[76:77]                                   // 000000005008: BEFE014C
	buffer_load_dword v160, v248, s[16:19], 0 idxen            // 00000000500C: E0502000 8004A0F8
	s_mov_b64 exec, s[84:85]                                   // 000000005014: BEFE0154
	v_mov_b32_e32 v161, 0                                      // 000000005018: 7F420280
	s_mov_b64 exec, s[76:77]                                   // 00000000501C: BEFE014C
	buffer_load_dword v161, v249, s[16:19], 0 idxen            // 000000005020: E0502000 8004A1F9
	s_mov_b64 exec, s[84:85]                                   // 000000005028: BEFE0154
	v_mov_b32_e32 v162, 0                                      // 00000000502C: 7F440280
	s_mov_b64 exec, s[76:77]                                   // 000000005030: BEFE014C
	buffer_load_dword v162, v250, s[16:19], 0 idxen            // 000000005034: E0502000 8004A2FA
	s_mov_b64 exec, s[84:85]                                   // 00000000503C: BEFE0154
	v_mov_b32_e32 v163, 0                                      // 000000005040: 7F460280
	s_mov_b64 exec, s[76:77]                                   // 000000005044: BEFE014C
	buffer_load_dword v163, v251, s[16:19], 0 idxen            // 000000005048: E0502000 8004A3FB
	s_mov_b64 exec, s[84:85]                                   // 000000005050: BEFE0154
	s_mul_i32 s60, 4, s7                                       // 000000005054: 923C0784
	s_cmp_lt_i32 0, s73                                        // 000000005058: BF044980
	s_cselect_b32 s60, s60, 0                                  // 00000000505C: 853C803C
	v_add_u32_e32 v248, s60, v248                              // 000000005060: 69F1F03C
	v_add_u32_e32 v249, s60, v249                              // 000000005064: 69F3F23C
	v_add_u32_e32 v250, s60, v250                              // 000000005068: 69F5F43C
	v_add_u32_e32 v251, s60, v251                              // 00000000506C: 69F7F63C
	v_mov_b32_e32 v164, 0                                      // 000000005070: 7F480280
	s_mov_b64 exec, s[76:77]                                   // 000000005074: BEFE014C
	buffer_load_dword v164, v248, s[16:19], 0 idxen            // 000000005078: E0502000 8004A4F8
	s_mov_b64 exec, s[84:85]                                   // 000000005080: BEFE0154
	v_mov_b32_e32 v165, 0                                      // 000000005084: 7F4A0280
	s_mov_b64 exec, s[76:77]                                   // 000000005088: BEFE014C
	buffer_load_dword v165, v249, s[16:19], 0 idxen            // 00000000508C: E0502000 8004A5F9
	s_mov_b64 exec, s[84:85]                                   // 000000005094: BEFE0154
	v_mov_b32_e32 v166, 0                                      // 000000005098: 7F4C0280
	s_mov_b64 exec, s[76:77]                                   // 00000000509C: BEFE014C
	buffer_load_dword v166, v250, s[16:19], 0 idxen            // 0000000050A0: E0502000 8004A6FA
	s_mov_b64 exec, s[84:85]                                   // 0000000050A8: BEFE0154
	v_mov_b32_e32 v167, 0                                      // 0000000050AC: 7F4E0280
	s_mov_b64 exec, s[76:77]                                   // 0000000050B0: BEFE014C
	buffer_load_dword v167, v251, s[16:19], 0 idxen            // 0000000050B4: E0502000 8004A7FB
	s_mov_b64 exec, s[84:85]                                   // 0000000050BC: BEFE0154
	s_mul_i32 s60, 4, s7                                       // 0000000050C0: 923C0784
	s_cmp_lt_i32 1, s73                                        // 0000000050C4: BF044981
	s_cselect_b32 s60, s60, 0                                  // 0000000050C8: 853C803C
	v_add_u32_e32 v248, s60, v248                              // 0000000050CC: 69F1F03C
	v_add_u32_e32 v249, s60, v249                              // 0000000050D0: 69F3F23C
	v_add_u32_e32 v250, s60, v250                              // 0000000050D4: 69F5F43C
	v_add_u32_e32 v251, s60, v251                              // 0000000050D8: 69F7F63C
	s_waitcnt lgkmcnt(0)                                       // 0000000050DC: BF8CC07F
	s_barrier                                                  // 0000000050E0: BF8A0000
	ds_read_b128 a[48:51], v23 offset:17408                    // 0000000050E4: DBFE4400 30000017
	ds_read_b128 a[52:55], v23 offset:17664                    // 0000000050EC: DBFE4500 34000017
	ds_read_b128 a[56:59], v23 offset:26112                    // 0000000050F4: DBFE6600 38000017
	ds_read_b128 a[60:63], v23 offset:26368                    // 0000000050FC: DBFE6700 3C000017
	ds_read_b128 a[0:3], v22                                   // 000000005104: DBFE0000 00000016
	ds_read_b128 a[4:7], v22 offset:512                        // 00000000510C: DBFE0200 04000016
	ds_read_b128 a[8:11], v22 offset:2176                      // 000000005114: DBFE0880 08000016
	ds_read_b128 a[12:15], v22 offset:2688                     // 00000000511C: DBFE0A80 0C000016
	s_waitcnt vmcnt(32) lgkmcnt(0)                             // 000000005124: BF8C8070
	s_barrier                                                  // 000000005128: BF8A0000
	s_cmp_lt_i32 1, s73                                        // 00000000512C: BF044981
	s_cbranch_scc1 label_04DD                                  // 000000005130: BF850010
	v_mov_b32_e32 v168, 0                                      // 000000005134: 7F500280
	v_mov_b32_e32 v169, 0                                      // 000000005138: 7F520280
	v_mov_b32_e32 v170, 0                                      // 00000000513C: 7F540280
	v_mov_b32_e32 v171, 0                                      // 000000005140: 7F560280
	v_mov_b32_e32 v172, 0                                      // 000000005144: 7F580280
	v_mov_b32_e32 v173, 0                                      // 000000005148: 7F5A0280
	v_mov_b32_e32 v174, 0                                      // 00000000514C: 7F5C0280
	v_mov_b32_e32 v175, 0                                      // 000000005150: 7F5E0280
	v_mov_b32_e32 v176, 0                                      // 000000005154: 7F600280
	v_mov_b32_e32 v177, 0                                      // 000000005158: 7F620280
	v_mov_b32_e32 v178, 0                                      // 00000000515C: 7F640280
	v_mov_b32_e32 v179, 0                                      // 000000005160: 7F660280
	v_mov_b32_e32 v180, 0                                      // 000000005164: 7F680280
	v_mov_b32_e32 v181, 0                                      // 000000005168: 7F6A0280
	v_mov_b32_e32 v182, 0                                      // 00000000516C: 7F6C0280
	v_mov_b32_e32 v183, 0                                      // 000000005170: 7F6E0280

0000000000005174 <label_04DD>:
	v_perm_b32 v200, v169, v168, s63                           // 000000005174: D1ED00C8 00FF51A9
	v_perm_b32 v201, v169, v168, s64                           // 00000000517C: D1ED00C9 010351A9
	v_perm_b32 v202, v171, v170, s63                           // 000000005184: D1ED00CA 00FF55AB
	v_perm_b32 v203, v171, v170, s64                           // 00000000518C: D1ED00CB 010355AB
	v_perm_b32 v204, v173, v172, s63                           // 000000005194: D1ED00CC 00FF59AD
	v_perm_b32 v205, v173, v172, s64                           // 00000000519C: D1ED00CD 010359AD
	v_perm_b32 v206, v175, v174, s63                           // 0000000051A4: D1ED00CE 00FF5DAF
	v_perm_b32 v207, v175, v174, s64                           // 0000000051AC: D1ED00CF 01035DAF
	v_perm_b32 v208, v177, v176, s63                           // 0000000051B4: D1ED00D0 00FF61B1
	v_perm_b32 v209, v177, v176, s64                           // 0000000051BC: D1ED00D1 010361B1
	v_perm_b32 v210, v179, v178, s63                           // 0000000051C4: D1ED00D2 00FF65B3
	v_perm_b32 v211, v179, v178, s64                           // 0000000051CC: D1ED00D3 010365B3
	v_perm_b32 v212, v181, v180, s63                           // 0000000051D4: D1ED00D4 00FF69B5
	v_perm_b32 v213, v181, v180, s64                           // 0000000051DC: D1ED00D5 010369B5
	v_perm_b32 v214, v183, v182, s63                           // 0000000051E4: D1ED00D6 00FF6DB7
	v_perm_b32 v215, v183, v182, s64                           // 0000000051EC: D1ED00D7 01036DB7
	ds_write_b32 v13, v200 offset:17408                        // 0000000051F4: D81A4400 0000C80D
	ds_write_b32 v13, v201 offset:18464                        // 0000000051FC: D81A4820 0000C90D
	ds_write_b32 v13, v202 offset:17536                        // 000000005204: D81A4480 0000CA0D
	ds_write_b32 v13, v203 offset:18592                        // 00000000520C: D81A48A0 0000CB0D
	ds_write_b32 v13, v204 offset:21760                        // 000000005214: D81A5500 0000CC0D
	ds_write_b32 v13, v205 offset:22816                        // 00000000521C: D81A5920 0000CD0D
	ds_write_b32 v13, v206 offset:21888                        // 000000005224: D81A5580 0000CE0D
	ds_write_b32 v13, v207 offset:22944                        // 00000000522C: D81A59A0 0000CF0D
	ds_write_b32 v13, v208 offset:26112                        // 000000005234: D81A6600 0000D00D
	ds_write_b32 v13, v209 offset:27168                        // 00000000523C: D81A6A20 0000D10D
	ds_write_b32 v13, v210 offset:26240                        // 000000005244: D81A6680 0000D20D
	ds_write_b32 v13, v211 offset:27296                        // 00000000524C: D81A6AA0 0000D30D
	ds_write_b32 v13, v212 offset:30464                        // 000000005254: D81A7700 0000D40D
	ds_write_b32 v13, v213 offset:31520                        // 00000000525C: D81A7B20 0000D50D
	ds_write_b32 v13, v214 offset:30592                        // 000000005264: D81A7780 0000D60D
	ds_write_b32 v13, v215 offset:31648                        // 00000000526C: D81A7BA0 0000D70D
	ds_write_b32 v11, v168                                     // 000000005274: D81A0000 0000A80B
	ds_write_b32 v11, v169 offset:1056                         // 00000000527C: D81A0420 0000A90B
	ds_write_b32 v11, v170 offset:128                          // 000000005284: D81A0080 0000AA0B
	ds_write_b32 v11, v171 offset:1184                         // 00000000528C: D81A04A0 0000AB0B
	ds_write_b32 v11, v172 offset:4352                         // 000000005294: D81A1100 0000AC0B
	ds_write_b32 v11, v173 offset:5408                         // 00000000529C: D81A1520 0000AD0B
	ds_write_b32 v11, v174 offset:4480                         // 0000000052A4: D81A1180 0000AE0B
	ds_write_b32 v11, v175 offset:5536                         // 0000000052AC: D81A15A0 0000AF0B
	ds_write_b32 v11, v176 offset:8704                         // 0000000052B4: D81A2200 0000B00B
	ds_write_b32 v11, v177 offset:9760                         // 0000000052BC: D81A2620 0000B10B
	ds_write_b32 v11, v178 offset:8832                         // 0000000052C4: D81A2280 0000B20B
	ds_write_b32 v11, v179 offset:9888                         // 0000000052CC: D81A26A0 0000B30B
	ds_write_b32 v11, v180 offset:13056                        // 0000000052D4: D81A3300 0000B40B
	ds_write_b32 v11, v181 offset:14112                        // 0000000052DC: D81A3720 0000B50B
	ds_write_b32 v11, v182 offset:13184                        // 0000000052E4: D81A3380 0000B60B
	ds_write_b32 v11, v183 offset:14240                        // 0000000052EC: D81A37A0 0000B70B
	v_mov_b32_e32 v168, 0                                      // 0000000052F4: 7F500280
	s_mov_b64 exec, s[76:77]                                   // 0000000052F8: BEFE014C
	buffer_load_dword v168, v248, s[16:19], 0 idxen            // 0000000052FC: E0502000 8004A8F8
	s_mov_b64 exec, s[84:85]                                   // 000000005304: BEFE0154
	v_mov_b32_e32 v169, 0                                      // 000000005308: 7F520280
	s_mov_b64 exec, s[76:77]                                   // 00000000530C: BEFE014C
	buffer_load_dword v169, v249, s[16:19], 0 idxen            // 000000005310: E0502000 8004A9F9
	s_mov_b64 exec, s[84:85]                                   // 000000005318: BEFE0154
	v_mov_b32_e32 v170, 0                                      // 00000000531C: 7F540280
	s_mov_b64 exec, s[76:77]                                   // 000000005320: BEFE014C
	buffer_load_dword v170, v250, s[16:19], 0 idxen            // 000000005324: E0502000 8004AAFA
	s_mov_b64 exec, s[84:85]                                   // 00000000532C: BEFE0154
	v_mov_b32_e32 v171, 0                                      // 000000005330: 7F560280
	s_mov_b64 exec, s[76:77]                                   // 000000005334: BEFE014C
	buffer_load_dword v171, v251, s[16:19], 0 idxen            // 000000005338: E0502000 8004ABFB
	s_mov_b64 exec, s[84:85]                                   // 000000005340: BEFE0154
	s_mul_i32 s60, 4, s7                                       // 000000005344: 923C0784
	s_cmp_lt_i32 1, s73                                        // 000000005348: BF044981
	s_cselect_b32 s60, s60, 0                                  // 00000000534C: 853C803C
	v_add_u32_e32 v248, s60, v248                              // 000000005350: 69F1F03C
	v_add_u32_e32 v249, s60, v249                              // 000000005354: 69F3F23C
	v_add_u32_e32 v250, s60, v250                              // 000000005358: 69F5F43C
	v_add_u32_e32 v251, s60, v251                              // 00000000535C: 69F7F63C
	v_mov_b32_e32 v172, 0                                      // 000000005360: 7F580280
	s_mov_b64 exec, s[76:77]                                   // 000000005364: BEFE014C
	buffer_load_dword v172, v248, s[16:19], 0 idxen            // 000000005368: E0502000 8004ACF8
	s_mov_b64 exec, s[84:85]                                   // 000000005370: BEFE0154
	v_mov_b32_e32 v173, 0                                      // 000000005374: 7F5A0280
	s_mov_b64 exec, s[76:77]                                   // 000000005378: BEFE014C
	buffer_load_dword v173, v249, s[16:19], 0 idxen            // 00000000537C: E0502000 8004ADF9
	s_mov_b64 exec, s[84:85]                                   // 000000005384: BEFE0154
	v_mov_b32_e32 v174, 0                                      // 000000005388: 7F5C0280
	s_mov_b64 exec, s[76:77]                                   // 00000000538C: BEFE014C
	buffer_load_dword v174, v250, s[16:19], 0 idxen            // 000000005390: E0502000 8004AEFA
	s_mov_b64 exec, s[84:85]                                   // 000000005398: BEFE0154
	v_mov_b32_e32 v175, 0                                      // 00000000539C: 7F5E0280
	s_mov_b64 exec, s[76:77]                                   // 0000000053A0: BEFE014C
	buffer_load_dword v175, v251, s[16:19], 0 idxen            // 0000000053A4: E0502000 8004AFFB
	s_mov_b64 exec, s[84:85]                                   // 0000000053AC: BEFE0154
	s_mul_i32 s60, 4, s7                                       // 0000000053B0: 923C0784
	s_cmp_lt_i32 1, s73                                        // 0000000053B4: BF044981
	s_cselect_b32 s60, s60, 0                                  // 0000000053B8: 853C803C
	v_add_u32_e32 v248, s60, v248                              // 0000000053BC: 69F1F03C
	v_add_u32_e32 v249, s60, v249                              // 0000000053C0: 69F3F23C
	v_add_u32_e32 v250, s60, v250                              // 0000000053C4: 69F5F43C
	v_add_u32_e32 v251, s60, v251                              // 0000000053C8: 69F7F63C
	v_mov_b32_e32 v176, 0                                      // 0000000053CC: 7F600280
	s_mov_b64 exec, s[76:77]                                   // 0000000053D0: BEFE014C
	buffer_load_dword v176, v248, s[16:19], 0 idxen            // 0000000053D4: E0502000 8004B0F8
	s_mov_b64 exec, s[84:85]                                   // 0000000053DC: BEFE0154
	v_mov_b32_e32 v177, 0                                      // 0000000053E0: 7F620280
	s_mov_b64 exec, s[76:77]                                   // 0000000053E4: BEFE014C
	buffer_load_dword v177, v249, s[16:19], 0 idxen            // 0000000053E8: E0502000 8004B1F9
	s_mov_b64 exec, s[84:85]                                   // 0000000053F0: BEFE0154
	v_mov_b32_e32 v178, 0                                      // 0000000053F4: 7F640280
	s_mov_b64 exec, s[76:77]                                   // 0000000053F8: BEFE014C
	buffer_load_dword v178, v250, s[16:19], 0 idxen            // 0000000053FC: E0502000 8004B2FA
	s_mov_b64 exec, s[84:85]                                   // 000000005404: BEFE0154
	v_mov_b32_e32 v179, 0                                      // 000000005408: 7F660280
	s_mov_b64 exec, s[76:77]                                   // 00000000540C: BEFE014C
	buffer_load_dword v179, v251, s[16:19], 0 idxen            // 000000005410: E0502000 8004B3FB
	s_mov_b64 exec, s[84:85]                                   // 000000005418: BEFE0154
	s_mul_i32 s60, 4, s7                                       // 00000000541C: 923C0784
	s_cmp_lt_i32 1, s73                                        // 000000005420: BF044981
	s_cselect_b32 s60, s60, 0                                  // 000000005424: 853C803C
	v_add_u32_e32 v248, s60, v248                              // 000000005428: 69F1F03C
	v_add_u32_e32 v249, s60, v249                              // 00000000542C: 69F3F23C
	v_add_u32_e32 v250, s60, v250                              // 000000005430: 69F5F43C
	v_add_u32_e32 v251, s60, v251                              // 000000005434: 69F7F63C
	v_mov_b32_e32 v180, 0                                      // 000000005438: 7F680280
	s_mov_b64 exec, s[76:77]                                   // 00000000543C: BEFE014C
	buffer_load_dword v180, v248, s[16:19], 0 idxen            // 000000005440: E0502000 8004B4F8
	s_mov_b64 exec, s[84:85]                                   // 000000005448: BEFE0154
	v_mov_b32_e32 v181, 0                                      // 00000000544C: 7F6A0280
	s_mov_b64 exec, s[76:77]                                   // 000000005450: BEFE014C
	buffer_load_dword v181, v249, s[16:19], 0 idxen            // 000000005454: E0502000 8004B5F9
	s_mov_b64 exec, s[84:85]                                   // 00000000545C: BEFE0154
	v_mov_b32_e32 v182, 0                                      // 000000005460: 7F6C0280
	s_mov_b64 exec, s[76:77]                                   // 000000005464: BEFE014C
	buffer_load_dword v182, v250, s[16:19], 0 idxen            // 000000005468: E0502000 8004B6FA
	s_mov_b64 exec, s[84:85]                                   // 000000005470: BEFE0154
	v_mov_b32_e32 v183, 0                                      // 000000005474: 7F6E0280
	s_mov_b64 exec, s[76:77]                                   // 000000005478: BEFE014C
	buffer_load_dword v183, v251, s[16:19], 0 idxen            // 00000000547C: E0502000 8004B7FB
	s_mov_b64 exec, s[84:85]                                   // 000000005484: BEFE0154
	s_mul_i32 s60, 4, s7                                       // 000000005488: 923C0784
	s_cmp_lt_i32 2, s73                                        // 00000000548C: BF044982
	s_cselect_b32 s60, s60, 0                                  // 000000005490: 853C803C
	v_add_u32_e32 v248, s60, v248                              // 000000005494: 69F1F03C
	v_add_u32_e32 v249, s60, v249                              // 000000005498: 69F3F23C
	v_add_u32_e32 v250, s60, v250                              // 00000000549C: 69F5F43C
	v_add_u32_e32 v251, s60, v251                              // 0000000054A0: 69F7F63C
	s_waitcnt lgkmcnt(0)                                       // 0000000054A4: BF8CC07F
	s_barrier                                                  // 0000000054A8: BF8A0000
	ds_read_b128 a[64:67], v23 offset:17408                    // 0000000054AC: DBFE4400 40000017
	ds_read_b128 a[68:71], v23 offset:17664                    // 0000000054B4: DBFE4500 44000017
	ds_read_b128 a[72:75], v23 offset:26112                    // 0000000054BC: DBFE6600 48000017
	ds_read_b128 a[76:79], v23 offset:26368                    // 0000000054C4: DBFE6700 4C000017
	ds_read_b128 a[16:19], v22                                 // 0000000054CC: DBFE0000 10000016
	ds_read_b128 a[20:23], v22 offset:512                      // 0000000054D4: DBFE0200 14000016
	ds_read_b128 a[24:27], v22 offset:2176                     // 0000000054DC: DBFE0880 18000016
	ds_read_b128 a[28:31], v22 offset:2688                     // 0000000054E4: DBFE0A80 1C000016
	s_waitcnt vmcnt(32) lgkmcnt(0)                             // 0000000054EC: BF8C8070
	s_barrier                                                  // 0000000054F0: BF8A0000
	s_cmp_lt_i32 2, s73                                        // 0000000054F4: BF044982
	s_cbranch_scc1 label_05CF                                  // 0000000054F8: BF850010
	v_mov_b32_e32 v184, 0                                      // 0000000054FC: 7F700280
	v_mov_b32_e32 v185, 0                                      // 000000005500: 7F720280
	v_mov_b32_e32 v186, 0                                      // 000000005504: 7F740280
	v_mov_b32_e32 v187, 0                                      // 000000005508: 7F760280
	v_mov_b32_e32 v188, 0                                      // 00000000550C: 7F780280
	v_mov_b32_e32 v189, 0                                      // 000000005510: 7F7A0280
	v_mov_b32_e32 v190, 0                                      // 000000005514: 7F7C0280
	v_mov_b32_e32 v191, 0                                      // 000000005518: 7F7E0280
	v_mov_b32_e32 v192, 0                                      // 00000000551C: 7F800280
	v_mov_b32_e32 v193, 0                                      // 000000005520: 7F820280
	v_mov_b32_e32 v194, 0                                      // 000000005524: 7F840280
	v_mov_b32_e32 v195, 0                                      // 000000005528: 7F860280
	v_mov_b32_e32 v196, 0                                      // 00000000552C: 7F880280
	v_mov_b32_e32 v197, 0                                      // 000000005530: 7F8A0280
	v_mov_b32_e32 v198, 0                                      // 000000005534: 7F8C0280
	v_mov_b32_e32 v199, 0                                      // 000000005538: 7F8E0280

000000000000553c <label_05CF>:
	v_perm_b32 v200, v185, v184, s63                           // 00000000553C: D1ED00C8 00FF71B9
	v_perm_b32 v201, v185, v184, s64                           // 000000005544: D1ED00C9 010371B9
	v_perm_b32 v202, v187, v186, s63                           // 00000000554C: D1ED00CA 00FF75BB
	v_perm_b32 v203, v187, v186, s64                           // 000000005554: D1ED00CB 010375BB
	v_perm_b32 v204, v189, v188, s63                           // 00000000555C: D1ED00CC 00FF79BD
	v_perm_b32 v205, v189, v188, s64                           // 000000005564: D1ED00CD 010379BD
	v_perm_b32 v206, v191, v190, s63                           // 00000000556C: D1ED00CE 00FF7DBF
	v_perm_b32 v207, v191, v190, s64                           // 000000005574: D1ED00CF 01037DBF
	v_perm_b32 v208, v193, v192, s63                           // 00000000557C: D1ED00D0 00FF81C1
	v_perm_b32 v209, v193, v192, s64                           // 000000005584: D1ED00D1 010381C1
	v_perm_b32 v210, v195, v194, s63                           // 00000000558C: D1ED00D2 00FF85C3
	v_perm_b32 v211, v195, v194, s64                           // 000000005594: D1ED00D3 010385C3
	v_perm_b32 v212, v197, v196, s63                           // 00000000559C: D1ED00D4 00FF89C5
	v_perm_b32 v213, v197, v196, s64                           // 0000000055A4: D1ED00D5 010389C5
	v_perm_b32 v214, v199, v198, s63                           // 0000000055AC: D1ED00D6 00FF8DC7
	v_perm_b32 v215, v199, v198, s64                           // 0000000055B4: D1ED00D7 01038DC7
	ds_write_b32 v13, v200 offset:17408                        // 0000000055BC: D81A4400 0000C80D
	ds_write_b32 v13, v201 offset:18464                        // 0000000055C4: D81A4820 0000C90D
	ds_write_b32 v13, v202 offset:17536                        // 0000000055CC: D81A4480 0000CA0D
	ds_write_b32 v13, v203 offset:18592                        // 0000000055D4: D81A48A0 0000CB0D
	ds_write_b32 v13, v204 offset:21760                        // 0000000055DC: D81A5500 0000CC0D
	ds_write_b32 v13, v205 offset:22816                        // 0000000055E4: D81A5920 0000CD0D
	ds_write_b32 v13, v206 offset:21888                        // 0000000055EC: D81A5580 0000CE0D
	ds_write_b32 v13, v207 offset:22944                        // 0000000055F4: D81A59A0 0000CF0D
	ds_write_b32 v13, v208 offset:26112                        // 0000000055FC: D81A6600 0000D00D
	ds_write_b32 v13, v209 offset:27168                        // 000000005604: D81A6A20 0000D10D
	ds_write_b32 v13, v210 offset:26240                        // 00000000560C: D81A6680 0000D20D
	ds_write_b32 v13, v211 offset:27296                        // 000000005614: D81A6AA0 0000D30D
	ds_write_b32 v13, v212 offset:30464                        // 00000000561C: D81A7700 0000D40D
	ds_write_b32 v13, v213 offset:31520                        // 000000005624: D81A7B20 0000D50D
	ds_write_b32 v13, v214 offset:30592                        // 00000000562C: D81A7780 0000D60D
	ds_write_b32 v13, v215 offset:31648                        // 000000005634: D81A7BA0 0000D70D
	ds_write_b32 v11, v184                                     // 00000000563C: D81A0000 0000B80B
	ds_write_b32 v11, v185 offset:1056                         // 000000005644: D81A0420 0000B90B
	ds_write_b32 v11, v186 offset:128                          // 00000000564C: D81A0080 0000BA0B
	ds_write_b32 v11, v187 offset:1184                         // 000000005654: D81A04A0 0000BB0B
	ds_write_b32 v11, v188 offset:4352                         // 00000000565C: D81A1100 0000BC0B
	ds_write_b32 v11, v189 offset:5408                         // 000000005664: D81A1520 0000BD0B
	ds_write_b32 v11, v190 offset:4480                         // 00000000566C: D81A1180 0000BE0B
	ds_write_b32 v11, v191 offset:5536                         // 000000005674: D81A15A0 0000BF0B
	ds_write_b32 v11, v192 offset:8704                         // 00000000567C: D81A2200 0000C00B
	ds_write_b32 v11, v193 offset:9760                         // 000000005684: D81A2620 0000C10B
	ds_write_b32 v11, v194 offset:8832                         // 00000000568C: D81A2280 0000C20B
	ds_write_b32 v11, v195 offset:9888                         // 000000005694: D81A26A0 0000C30B
	ds_write_b32 v11, v196 offset:13056                        // 00000000569C: D81A3300 0000C40B
	ds_write_b32 v11, v197 offset:14112                        // 0000000056A4: D81A3720 0000C50B
	ds_write_b32 v11, v198 offset:13184                        // 0000000056AC: D81A3380 0000C60B
	ds_write_b32 v11, v199 offset:14240                        // 0000000056B4: D81A37A0 0000C70B
	v_mov_b32_e32 v184, 0                                      // 0000000056BC: 7F700280
	s_mov_b64 exec, s[76:77]                                   // 0000000056C0: BEFE014C
	buffer_load_dword v184, v248, s[16:19], 0 idxen            // 0000000056C4: E0502000 8004B8F8
	s_mov_b64 exec, s[84:85]                                   // 0000000056CC: BEFE0154
	v_mov_b32_e32 v185, 0                                      // 0000000056D0: 7F720280
	s_mov_b64 exec, s[76:77]                                   // 0000000056D4: BEFE014C
	buffer_load_dword v185, v249, s[16:19], 0 idxen            // 0000000056D8: E0502000 8004B9F9
	s_mov_b64 exec, s[84:85]                                   // 0000000056E0: BEFE0154
	v_mov_b32_e32 v186, 0                                      // 0000000056E4: 7F740280
	s_mov_b64 exec, s[76:77]                                   // 0000000056E8: BEFE014C
	buffer_load_dword v186, v250, s[16:19], 0 idxen            // 0000000056EC: E0502000 8004BAFA
	s_mov_b64 exec, s[84:85]                                   // 0000000056F4: BEFE0154
	v_mov_b32_e32 v187, 0                                      // 0000000056F8: 7F760280
	s_mov_b64 exec, s[76:77]                                   // 0000000056FC: BEFE014C
	buffer_load_dword v187, v251, s[16:19], 0 idxen            // 000000005700: E0502000 8004BBFB
	s_mov_b64 exec, s[84:85]                                   // 000000005708: BEFE0154
	s_mul_i32 s60, 4, s7                                       // 00000000570C: 923C0784
	s_cmp_lt_i32 2, s73                                        // 000000005710: BF044982
	s_cselect_b32 s60, s60, 0                                  // 000000005714: 853C803C
	v_add_u32_e32 v248, s60, v248                              // 000000005718: 69F1F03C
	v_add_u32_e32 v249, s60, v249                              // 00000000571C: 69F3F23C
	v_add_u32_e32 v250, s60, v250                              // 000000005720: 69F5F43C
	v_add_u32_e32 v251, s60, v251                              // 000000005724: 69F7F63C
	v_mov_b32_e32 v188, 0                                      // 000000005728: 7F780280
	s_mov_b64 exec, s[76:77]                                   // 00000000572C: BEFE014C
	buffer_load_dword v188, v248, s[16:19], 0 idxen            // 000000005730: E0502000 8004BCF8
	s_mov_b64 exec, s[84:85]                                   // 000000005738: BEFE0154
	v_mov_b32_e32 v189, 0                                      // 00000000573C: 7F7A0280
	s_mov_b64 exec, s[76:77]                                   // 000000005740: BEFE014C
	buffer_load_dword v189, v249, s[16:19], 0 idxen            // 000000005744: E0502000 8004BDF9
	s_mov_b64 exec, s[84:85]                                   // 00000000574C: BEFE0154
	v_mov_b32_e32 v190, 0                                      // 000000005750: 7F7C0280
	s_mov_b64 exec, s[76:77]                                   // 000000005754: BEFE014C
	buffer_load_dword v190, v250, s[16:19], 0 idxen            // 000000005758: E0502000 8004BEFA
	s_mov_b64 exec, s[84:85]                                   // 000000005760: BEFE0154
	v_mov_b32_e32 v191, 0                                      // 000000005764: 7F7E0280
	s_mov_b64 exec, s[76:77]                                   // 000000005768: BEFE014C
	buffer_load_dword v191, v251, s[16:19], 0 idxen            // 00000000576C: E0502000 8004BFFB
	s_mov_b64 exec, s[84:85]                                   // 000000005774: BEFE0154
	s_mul_i32 s60, 4, s7                                       // 000000005778: 923C0784
	s_cmp_lt_i32 2, s73                                        // 00000000577C: BF044982
	s_cselect_b32 s60, s60, 0                                  // 000000005780: 853C803C
	v_add_u32_e32 v248, s60, v248                              // 000000005784: 69F1F03C
	v_add_u32_e32 v249, s60, v249                              // 000000005788: 69F3F23C
	v_add_u32_e32 v250, s60, v250                              // 00000000578C: 69F5F43C
	v_add_u32_e32 v251, s60, v251                              // 000000005790: 69F7F63C
	v_mov_b32_e32 v192, 0                                      // 000000005794: 7F800280
	s_mov_b64 exec, s[76:77]                                   // 000000005798: BEFE014C
	buffer_load_dword v192, v248, s[16:19], 0 idxen            // 00000000579C: E0502000 8004C0F8
	s_mov_b64 exec, s[84:85]                                   // 0000000057A4: BEFE0154
	v_mov_b32_e32 v193, 0                                      // 0000000057A8: 7F820280
	s_mov_b64 exec, s[76:77]                                   // 0000000057AC: BEFE014C
	buffer_load_dword v193, v249, s[16:19], 0 idxen            // 0000000057B0: E0502000 8004C1F9
	s_mov_b64 exec, s[84:85]                                   // 0000000057B8: BEFE0154
	v_mov_b32_e32 v194, 0                                      // 0000000057BC: 7F840280
	s_mov_b64 exec, s[76:77]                                   // 0000000057C0: BEFE014C
	buffer_load_dword v194, v250, s[16:19], 0 idxen            // 0000000057C4: E0502000 8004C2FA
	s_mov_b64 exec, s[84:85]                                   // 0000000057CC: BEFE0154
	v_mov_b32_e32 v195, 0                                      // 0000000057D0: 7F860280
	s_mov_b64 exec, s[76:77]                                   // 0000000057D4: BEFE014C
	buffer_load_dword v195, v251, s[16:19], 0 idxen            // 0000000057D8: E0502000 8004C3FB
	s_mov_b64 exec, s[84:85]                                   // 0000000057E0: BEFE0154
	s_mul_i32 s60, 4, s7                                       // 0000000057E4: 923C0784
	s_cmp_lt_i32 2, s73                                        // 0000000057E8: BF044982
	s_cselect_b32 s60, s60, 0                                  // 0000000057EC: 853C803C
	v_add_u32_e32 v248, s60, v248                              // 0000000057F0: 69F1F03C
	v_add_u32_e32 v249, s60, v249                              // 0000000057F4: 69F3F23C
	v_add_u32_e32 v250, s60, v250                              // 0000000057F8: 69F5F43C
	v_add_u32_e32 v251, s60, v251                              // 0000000057FC: 69F7F63C
	v_mov_b32_e32 v196, 0                                      // 000000005800: 7F880280
	s_mov_b64 exec, s[76:77]                                   // 000000005804: BEFE014C
	buffer_load_dword v196, v248, s[16:19], 0 idxen            // 000000005808: E0502000 8004C4F8
	s_mov_b64 exec, s[84:85]                                   // 000000005810: BEFE0154
	v_mov_b32_e32 v197, 0                                      // 000000005814: 7F8A0280
	s_mov_b64 exec, s[76:77]                                   // 000000005818: BEFE014C
	buffer_load_dword v197, v249, s[16:19], 0 idxen            // 00000000581C: E0502000 8004C5F9
	s_mov_b64 exec, s[84:85]                                   // 000000005824: BEFE0154
	v_mov_b32_e32 v198, 0                                      // 000000005828: 7F8C0280
	s_mov_b64 exec, s[76:77]                                   // 00000000582C: BEFE014C
	buffer_load_dword v198, v250, s[16:19], 0 idxen            // 000000005830: E0502000 8004C6FA
	s_mov_b64 exec, s[84:85]                                   // 000000005838: BEFE0154
	v_mov_b32_e32 v199, 0                                      // 00000000583C: 7F8E0280
	s_mov_b64 exec, s[76:77]                                   // 000000005840: BEFE014C
	buffer_load_dword v199, v251, s[16:19], 0 idxen            // 000000005844: E0502000 8004C7FB
	s_mov_b64 exec, s[84:85]                                   // 00000000584C: BEFE0154
	s_mul_i32 s60, 4, s7                                       // 000000005850: 923C0784
	s_cmp_lt_i32 3, s73                                        // 000000005854: BF044983
	s_cselect_b32 s60, s60, 0                                  // 000000005858: 853C803C
	v_add_u32_e32 v248, s60, v248                              // 00000000585C: 69F1F03C
	v_add_u32_e32 v249, s60, v249                              // 000000005860: 69F3F23C
	v_add_u32_e32 v250, s60, v250                              // 000000005864: 69F5F43C
	v_add_u32_e32 v251, s60, v251                              // 000000005868: 69F7F63C
	s_waitcnt lgkmcnt(0)                                       // 00000000586C: BF8CC07F
	s_barrier                                                  // 000000005870: BF8A0000
	ds_read_b128 a[80:83], v23 offset:17408                    // 000000005874: DBFE4400 50000017
	ds_read_b128 a[84:87], v23 offset:17664                    // 00000000587C: DBFE4500 54000017
	ds_read_b128 a[88:91], v23 offset:26112                    // 000000005884: DBFE6600 58000017
	ds_read_b128 a[92:95], v23 offset:26368                    // 00000000588C: DBFE6700 5C000017
	ds_read_b128 a[32:35], v22                                 // 000000005894: DBFE0000 20000016
	ds_read_b128 a[36:39], v22 offset:512                      // 00000000589C: DBFE0200 24000016
	ds_read_b128 a[40:43], v22 offset:2176                     // 0000000058A4: DBFE0880 28000016
	ds_read_b128 a[44:47], v22 offset:2688                     // 0000000058AC: DBFE0A80 2C000016
	s_waitcnt vmcnt(32) lgkmcnt(0)                             // 0000000058B4: BF8C8070
	s_barrier                                                  // 0000000058B8: BF8A0000
	s_cmp_lt_i32 0, s73                                        // 0000000058BC: BF044980
	s_cbranch_scc1 label_06C1                                  // 0000000058C0: BF850010
	v_mov_b32_e32 v152, 0                                      // 0000000058C4: 7F300280
	v_mov_b32_e32 v153, 0                                      // 0000000058C8: 7F320280
	v_mov_b32_e32 v154, 0                                      // 0000000058CC: 7F340280
	v_mov_b32_e32 v155, 0                                      // 0000000058D0: 7F360280
	v_mov_b32_e32 v156, 0                                      // 0000000058D4: 7F380280
	v_mov_b32_e32 v157, 0                                      // 0000000058D8: 7F3A0280
	v_mov_b32_e32 v158, 0                                      // 0000000058DC: 7F3C0280
	v_mov_b32_e32 v159, 0                                      // 0000000058E0: 7F3E0280
	v_mov_b32_e32 v160, 0                                      // 0000000058E4: 7F400280
	v_mov_b32_e32 v161, 0                                      // 0000000058E8: 7F420280
	v_mov_b32_e32 v162, 0                                      // 0000000058EC: 7F440280
	v_mov_b32_e32 v163, 0                                      // 0000000058F0: 7F460280
	v_mov_b32_e32 v164, 0                                      // 0000000058F4: 7F480280
	v_mov_b32_e32 v165, 0                                      // 0000000058F8: 7F4A0280
	v_mov_b32_e32 v166, 0                                      // 0000000058FC: 7F4C0280
	v_mov_b32_e32 v167, 0                                      // 000000005900: 7F4E0280

0000000000005904 <label_06C1>:
	ds_write_b32 v11, v152                                     // 000000005904: D81A0000 0000980B
	ds_write_b32 v11, v153 offset:1056                         // 00000000590C: D81A0420 0000990B
	ds_write_b32 v11, v154 offset:128                          // 000000005914: D81A0080 00009A0B
	ds_write_b32 v11, v155 offset:1184                         // 00000000591C: D81A04A0 00009B0B
	ds_write_b32 v11, v156 offset:4352                         // 000000005924: D81A1100 00009C0B
	ds_write_b32 v11, v157 offset:5408                         // 00000000592C: D81A1520 00009D0B
	ds_write_b32 v11, v158 offset:4480                         // 000000005934: D81A1180 00009E0B
	ds_write_b32 v11, v159 offset:5536                         // 00000000593C: D81A15A0 00009F0B
	ds_write_b32 v11, v160 offset:8704                         // 000000005944: D81A2200 0000A00B
	ds_write_b32 v11, v161 offset:9760                         // 00000000594C: D81A2620 0000A10B
	ds_write_b32 v11, v162 offset:8832                         // 000000005954: D81A2280 0000A20B
	ds_write_b32 v11, v163 offset:9888                         // 00000000595C: D81A26A0 0000A30B
	ds_write_b32 v11, v164 offset:13056                        // 000000005964: D81A3300 0000A40B
	ds_write_b32 v11, v165 offset:14112                        // 00000000596C: D81A3720 0000A50B
	ds_write_b32 v11, v166 offset:13184                        // 000000005974: D81A3380 0000A60B
	ds_write_b32 v11, v167 offset:14240                        // 00000000597C: D81A37A0 0000A70B
	s_mov_b32 s71, s5                                          // 000000005984: BEC70005
	v_lshrrev_b32_e32 v28, 4, v0                               // 000000005988: 20380084
	v_and_b32_e32 v29, 1, v28                                  // 00000000598C: 263A3881
	v_lshlrev_b32_e32 v29, 1, v29                              // 000000005990: 243A3A81
	v_mul_i32_i24_e32 v29, s71, v29                            // 000000005994: 0C3A3A47
	v_and_b32_e32 v30, 2, v28                                  // 000000005998: 263C3882
	v_lshlrev_b32_e32 v30, 5, v30                              // 00000000599C: 243C3C85
	v_add_u32_e32 v29, v30, v29                                // 0000000059A0: 683A3B1E
	v_and_b32_e32 v28, 15, v0                                  // 0000000059A4: 2638008F
	v_lshlrev_b32_e32 v28, 2, v28                              // 0000000059A8: 24383882
	v_add_u32_e32 v1, v28, v29                                 // 0000000059AC: 68023B1C
	s_and_b32 s60, 1, s46                                      // 0000000059B0: 863C2E81
	s_mul_i32 s60, s60, s71                                    // 0000000059B4: 923C473C
	s_mul_i32 s60, s60, 8                                      // 0000000059B8: 923C883C
	s_lshr_b32 s61, s46, 1                                     // 0000000059BC: 8F3D812E
	s_mul_i32 s61, s61, 0x80                                   // 0000000059C0: 923DFF3D 00000080
	s_add_u32 s60, s60, s61                                    // 0000000059C8: 803C3D3C
	v_add_u32_e32 v1, s60, v1                                  // 0000000059CC: 6802023C
	v_add_u32_e32 v2, s71, v1                                  // 0000000059D0: 68040247
	s_mul_i32 s60, 4, s71                                      // 0000000059D4: 923C4784
	v_add_u32_e32 v3, s60, v1                                  // 0000000059D8: 6806023C
	v_add_u32_e32 v4, s60, v2                                  // 0000000059DC: 6808043C
	s_mov_b32 s71, s51                                         // 0000000059E0: BEC70033
	v_lshrrev_b32_e32 v28, 4, v0                               // 0000000059E4: 20380084
	v_and_b32_e32 v29, 1, v28                                  // 0000000059E8: 263A3881
	v_lshlrev_b32_e32 v29, 1, v29                              // 0000000059EC: 243A3A81
	v_mul_i32_i24_e32 v29, s71, v29                            // 0000000059F0: 0C3A3A47
	v_and_b32_e32 v30, 2, v28                                  // 0000000059F4: 263C3882
	v_lshlrev_b32_e32 v30, 5, v30                              // 0000000059F8: 243C3C85
	v_add_u32_e32 v29, v30, v29                                // 0000000059FC: 683A3B1E
	v_and_b32_e32 v28, 15, v0                                  // 000000005A00: 2638008F
	v_lshlrev_b32_e32 v28, 2, v28                              // 000000005A04: 24383882
	v_add_u32_e32 v248, v28, v29                               // 000000005A08: 69F03B1C
	s_and_b32 s60, 1, s46                                      // 000000005A0C: 863C2E81
	s_mul_i32 s60, s60, s71                                    // 000000005A10: 923C473C
	s_mul_i32 s60, s60, 8                                      // 000000005A14: 923C883C
	s_lshr_b32 s61, s46, 1                                     // 000000005A18: 8F3D812E
	s_mul_i32 s61, s61, 0x80                                   // 000000005A1C: 923DFF3D 00000080
	s_add_u32 s60, s60, s61                                    // 000000005A24: 803C3D3C
	v_add_u32_e32 v248, s60, v248                              // 000000005A28: 69F1F03C
	v_add_u32_e32 v249, s71, v248                              // 000000005A2C: 69F3F047
	s_mul_i32 s60, 4, s71                                      // 000000005A30: 923C4784
	v_add_u32_e32 v250, s60, v248                              // 000000005A34: 69F5F03C
	v_add_u32_e32 v251, s60, v249                              // 000000005A38: 69F7F23C
	v_lshrrev_b32_e32 v1, 2, v1                                // 000000005A3C: 20020282
	v_lshrrev_b32_e32 v2, 2, v2                                // 000000005A40: 20040482
	v_lshrrev_b32_e32 v3, 2, v3                                // 000000005A44: 20060682
	v_lshrrev_b32_e32 v4, 2, v4                                // 000000005A48: 20080882
	v_lshrrev_b32_e32 v248, 2, v248                            // 000000005A4C: 21F1F082
	v_lshrrev_b32_e32 v249, 2, v249                            // 000000005A50: 21F3F282
	v_lshrrev_b32_e32 v250, 2, v250                            // 000000005A54: 21F5F482
	v_lshrrev_b32_e32 v251, 2, v251                            // 000000005A58: 21F7F682
	v_mov_b32_e32 v32, 0                                       // 000000005A5C: 7E400280
	s_mov_b64 exec, s[76:77]                                   // 000000005A60: BEFE014C
	buffer_load_dword v32, v1, s[8:11], 0 idxen                // 000000005A64: E0502000 80022001
	s_mov_b64 exec, s[84:85]                                   // 000000005A6C: BEFE0154
	v_mov_b32_e32 v33, 0                                       // 000000005A70: 7E420280
	s_mov_b64 exec, s[76:77]                                   // 000000005A74: BEFE014C
	buffer_load_dword v33, v2, s[8:11], 0 idxen                // 000000005A78: E0502000 80022102
	s_mov_b64 exec, s[84:85]                                   // 000000005A80: BEFE0154
	v_mov_b32_e32 v34, 0                                       // 000000005A84: 7E440280
	s_mov_b64 exec, s[76:77]                                   // 000000005A88: BEFE014C
	buffer_load_dword v34, v3, s[8:11], 0 idxen                // 000000005A8C: E0502000 80022203
	s_mov_b64 exec, s[84:85]                                   // 000000005A94: BEFE0154
	v_mov_b32_e32 v35, 0                                       // 000000005A98: 7E460280
	s_mov_b64 exec, s[76:77]                                   // 000000005A9C: BEFE014C
	buffer_load_dword v35, v4, s[8:11], 0 idxen                // 000000005AA0: E0502000 80022304
	s_mov_b64 exec, s[84:85]                                   // 000000005AA8: BEFE0154
	v_mov_b32_e32 v40, 0                                       // 000000005AAC: 7E500280
	s_mov_b64 exec, s[76:77]                                   // 000000005AB0: BEFE014C
	buffer_load_dword v40, v248, s[20:23], 0 idxen             // 000000005AB4: E0502000 800528F8
	s_mov_b64 exec, s[84:85]                                   // 000000005ABC: BEFE0154
	v_mov_b32_e32 v41, 0                                       // 000000005AC0: 7E520280
	s_mov_b64 exec, s[76:77]                                   // 000000005AC4: BEFE014C
	buffer_load_dword v41, v249, s[20:23], 0 idxen             // 000000005AC8: E0502000 800529F9
	s_mov_b64 exec, s[84:85]                                   // 000000005AD0: BEFE0154
	v_mov_b32_e32 v42, 0                                       // 000000005AD4: 7E540280
	s_mov_b64 exec, s[76:77]                                   // 000000005AD8: BEFE014C
	buffer_load_dword v42, v250, s[20:23], 0 idxen             // 000000005ADC: E0502000 80052AFA
	s_mov_b64 exec, s[84:85]                                   // 000000005AE4: BEFE0154
	v_mov_b32_e32 v43, 0                                       // 000000005AE8: 7E560280
	s_mov_b64 exec, s[76:77]                                   // 000000005AEC: BEFE014C
	buffer_load_dword v43, v251, s[20:23], 0 idxen             // 000000005AF0: E0502000 80052BFB
	s_mov_b64 exec, s[84:85]                                   // 000000005AF8: BEFE0154
	s_waitcnt lgkmcnt(0)                                       // 000000005AFC: BF8CC07F
	s_barrier                                                  // 000000005B00: BF8A0000
	ds_read_b128 a[96:99], v22                                 // 000000005B04: DBFE0000 60000016
	ds_read_b128 a[100:103], v22 offset:512                    // 000000005B0C: DBFE0200 64000016
	ds_read_b128 a[104:107], v22 offset:2176                   // 000000005B14: DBFE0880 68000016
	ds_read_b128 a[108:111], v22 offset:2688                   // 000000005B1C: DBFE0A80 6C000016
	v_add_u32_e32 v1, s68, v1                                  // 000000005B24: 68020244
	v_add_u32_e32 v2, s68, v2                                  // 000000005B28: 68040444
	v_add_u32_e32 v3, s68, v3                                  // 000000005B2C: 68060644
	v_add_u32_e32 v4, s68, v4                                  // 000000005B30: 68080844
	v_add_u32_e32 v248, s101, v248                             // 000000005B34: 69F1F065
	v_add_u32_e32 v249, s101, v249                             // 000000005B38: 69F3F265
	v_add_u32_e32 v250, s101, v250                             // 000000005B3C: 69F5F465
	v_add_u32_e32 v251, s101, v251                             // 000000005B40: 69F7F665
	s_waitcnt vmcnt(24) lgkmcnt(0)                             // 000000005B44: BF8C4078
	s_barrier                                                  // 000000005B48: BF8A0000
	s_cmp_lt_i32 1, s73                                        // 000000005B4C: BF044981
	s_cbranch_scc1 label_0765                                  // 000000005B50: BF850010
	v_mov_b32_e32 v168, 0                                      // 000000005B54: 7F500280
	v_mov_b32_e32 v169, 0                                      // 000000005B58: 7F520280
	v_mov_b32_e32 v170, 0                                      // 000000005B5C: 7F540280
	v_mov_b32_e32 v171, 0                                      // 000000005B60: 7F560280
	v_mov_b32_e32 v172, 0                                      // 000000005B64: 7F580280
	v_mov_b32_e32 v173, 0                                      // 000000005B68: 7F5A0280
	v_mov_b32_e32 v174, 0                                      // 000000005B6C: 7F5C0280
	v_mov_b32_e32 v175, 0                                      // 000000005B70: 7F5E0280
	v_mov_b32_e32 v176, 0                                      // 000000005B74: 7F600280
	v_mov_b32_e32 v177, 0                                      // 000000005B78: 7F620280
	v_mov_b32_e32 v178, 0                                      // 000000005B7C: 7F640280
	v_mov_b32_e32 v179, 0                                      // 000000005B80: 7F660280
	v_mov_b32_e32 v180, 0                                      // 000000005B84: 7F680280
	v_mov_b32_e32 v181, 0                                      // 000000005B88: 7F6A0280
	v_mov_b32_e32 v182, 0                                      // 000000005B8C: 7F6C0280
	v_mov_b32_e32 v183, 0                                      // 000000005B90: 7F6E0280

0000000000005b94 <label_0765>:
	ds_write_b32 v11, v168                                     // 000000005B94: D81A0000 0000A80B
	ds_write_b32 v11, v169 offset:1056                         // 000000005B9C: D81A0420 0000A90B
	ds_write_b32 v11, v170 offset:128                          // 000000005BA4: D81A0080 0000AA0B
	ds_write_b32 v11, v171 offset:1184                         // 000000005BAC: D81A04A0 0000AB0B
	ds_write_b32 v11, v172 offset:4352                         // 000000005BB4: D81A1100 0000AC0B
	ds_write_b32 v11, v173 offset:5408                         // 000000005BBC: D81A1520 0000AD0B
	ds_write_b32 v11, v174 offset:4480                         // 000000005BC4: D81A1180 0000AE0B
	ds_write_b32 v11, v175 offset:5536                         // 000000005BCC: D81A15A0 0000AF0B
	ds_write_b32 v11, v176 offset:8704                         // 000000005BD4: D81A2200 0000B00B
	ds_write_b32 v11, v177 offset:9760                         // 000000005BDC: D81A2620 0000B10B
	ds_write_b32 v11, v178 offset:8832                         // 000000005BE4: D81A2280 0000B20B
	ds_write_b32 v11, v179 offset:9888                         // 000000005BEC: D81A26A0 0000B30B
	ds_write_b32 v11, v180 offset:13056                        // 000000005BF4: D81A3300 0000B40B
	ds_write_b32 v11, v181 offset:14112                        // 000000005BFC: D81A3720 0000B50B
	ds_write_b32 v11, v182 offset:13184                        // 000000005C04: D81A3380 0000B60B
	ds_write_b32 v11, v183 offset:14240                        // 000000005C0C: D81A37A0 0000B70B
	v_mov_b32_e32 v36, 0                                       // 000000005C14: 7E480280
	s_mov_b64 exec, s[76:77]                                   // 000000005C18: BEFE014C
	buffer_load_dword v36, v1, s[8:11], 0 idxen                // 000000005C1C: E0502000 80022401
	s_mov_b64 exec, s[84:85]                                   // 000000005C24: BEFE0154
	v_mov_b32_e32 v37, 0                                       // 000000005C28: 7E4A0280
	s_mov_b64 exec, s[76:77]                                   // 000000005C2C: BEFE014C
	buffer_load_dword v37, v2, s[8:11], 0 idxen                // 000000005C30: E0502000 80022502
	s_mov_b64 exec, s[84:85]                                   // 000000005C38: BEFE0154
	v_mov_b32_e32 v38, 0                                       // 000000005C3C: 7E4C0280
	s_mov_b64 exec, s[76:77]                                   // 000000005C40: BEFE014C
	buffer_load_dword v38, v3, s[8:11], 0 idxen                // 000000005C44: E0502000 80022603
	s_mov_b64 exec, s[84:85]                                   // 000000005C4C: BEFE0154
	v_mov_b32_e32 v39, 0                                       // 000000005C50: 7E4E0280
	s_mov_b64 exec, s[76:77]                                   // 000000005C54: BEFE014C
	buffer_load_dword v39, v4, s[8:11], 0 idxen                // 000000005C58: E0502000 80022704
	s_mov_b64 exec, s[84:85]                                   // 000000005C60: BEFE0154
	v_mov_b32_e32 v44, 0                                       // 000000005C64: 7E580280
	s_mov_b64 exec, s[76:77]                                   // 000000005C68: BEFE014C
	buffer_load_dword v44, v248, s[20:23], 0 idxen             // 000000005C6C: E0502000 80052CF8
	s_mov_b64 exec, s[84:85]                                   // 000000005C74: BEFE0154
	v_mov_b32_e32 v45, 0                                       // 000000005C78: 7E5A0280
	s_mov_b64 exec, s[76:77]                                   // 000000005C7C: BEFE014C
	buffer_load_dword v45, v249, s[20:23], 0 idxen             // 000000005C80: E0502000 80052DF9
	s_mov_b64 exec, s[84:85]                                   // 000000005C88: BEFE0154
	v_mov_b32_e32 v46, 0                                       // 000000005C8C: 7E5C0280
	s_mov_b64 exec, s[76:77]                                   // 000000005C90: BEFE014C
	buffer_load_dword v46, v250, s[20:23], 0 idxen             // 000000005C94: E0502000 80052EFA
	s_mov_b64 exec, s[84:85]                                   // 000000005C9C: BEFE0154
	v_mov_b32_e32 v47, 0                                       // 000000005CA0: 7E5E0280
	s_mov_b64 exec, s[76:77]                                   // 000000005CA4: BEFE014C
	buffer_load_dword v47, v251, s[20:23], 0 idxen             // 000000005CA8: E0502000 80052FFB
	s_mov_b64 exec, s[84:85]                                   // 000000005CB0: BEFE0154
	s_waitcnt lgkmcnt(0)                                       // 000000005CB4: BF8CC07F
	s_barrier                                                  // 000000005CB8: BF8A0000
	ds_read_b128 a[112:115], v22                               // 000000005CBC: DBFE0000 70000016
	ds_read_b128 a[116:119], v22 offset:512                    // 000000005CC4: DBFE0200 74000016
	ds_read_b128 a[120:123], v22 offset:2176                   // 000000005CCC: DBFE0880 78000016
	ds_read_b128 a[124:127], v22 offset:2688                   // 000000005CD4: DBFE0A80 7C000016
	v_add_u32_e32 v1, s68, v1                                  // 000000005CDC: 68020244
	v_add_u32_e32 v2, s68, v2                                  // 000000005CE0: 68040444
	v_add_u32_e32 v3, s68, v3                                  // 000000005CE4: 68060644
	v_add_u32_e32 v4, s68, v4                                  // 000000005CE8: 68080844
	v_add_u32_e32 v248, s101, v248                             // 000000005CEC: 69F1F065
	v_add_u32_e32 v249, s101, v249                             // 000000005CF0: 69F3F265
	v_add_u32_e32 v250, s101, v250                             // 000000005CF4: 69F5F465
	v_add_u32_e32 v251, s101, v251                             // 000000005CF8: 69F7F665
	s_waitcnt vmcnt(16) lgkmcnt(0)                             // 000000005CFC: BF8C4070
	s_barrier                                                  // 000000005D00: BF8A0000
	s_cmp_lt_i32 2, s73                                        // 000000005D04: BF044982
	s_cbranch_scc1 label_07D3                                  // 000000005D08: BF850010
	v_mov_b32_e32 v184, 0                                      // 000000005D0C: 7F700280
	v_mov_b32_e32 v185, 0                                      // 000000005D10: 7F720280
	v_mov_b32_e32 v186, 0                                      // 000000005D14: 7F740280
	v_mov_b32_e32 v187, 0                                      // 000000005D18: 7F760280
	v_mov_b32_e32 v188, 0                                      // 000000005D1C: 7F780280
	v_mov_b32_e32 v189, 0                                      // 000000005D20: 7F7A0280
	v_mov_b32_e32 v190, 0                                      // 000000005D24: 7F7C0280
	v_mov_b32_e32 v191, 0                                      // 000000005D28: 7F7E0280
	v_mov_b32_e32 v192, 0                                      // 000000005D2C: 7F800280
	v_mov_b32_e32 v193, 0                                      // 000000005D30: 7F820280
	v_mov_b32_e32 v194, 0                                      // 000000005D34: 7F840280
	v_mov_b32_e32 v195, 0                                      // 000000005D38: 7F860280
	v_mov_b32_e32 v196, 0                                      // 000000005D3C: 7F880280
	v_mov_b32_e32 v197, 0                                      // 000000005D40: 7F8A0280
	v_mov_b32_e32 v198, 0                                      // 000000005D44: 7F8C0280
	v_mov_b32_e32 v199, 0                                      // 000000005D48: 7F8E0280

0000000000005d4c <label_07D3>:
	ds_write_b32 v11, v184                                     // 000000005D4C: D81A0000 0000B80B
	ds_write_b32 v11, v185 offset:1056                         // 000000005D54: D81A0420 0000B90B
	ds_write_b32 v11, v186 offset:128                          // 000000005D5C: D81A0080 0000BA0B
	ds_write_b32 v11, v187 offset:1184                         // 000000005D64: D81A04A0 0000BB0B
	ds_write_b32 v11, v188 offset:4352                         // 000000005D6C: D81A1100 0000BC0B
	ds_write_b32 v11, v189 offset:5408                         // 000000005D74: D81A1520 0000BD0B
	ds_write_b32 v11, v190 offset:4480                         // 000000005D7C: D81A1180 0000BE0B
	ds_write_b32 v11, v191 offset:5536                         // 000000005D84: D81A15A0 0000BF0B
	ds_write_b32 v11, v192 offset:8704                         // 000000005D8C: D81A2200 0000C00B
	ds_write_b32 v11, v193 offset:9760                         // 000000005D94: D81A2620 0000C10B
	ds_write_b32 v11, v194 offset:8832                         // 000000005D9C: D81A2280 0000C20B
	ds_write_b32 v11, v195 offset:9888                         // 000000005DA4: D81A26A0 0000C30B
	ds_write_b32 v11, v196 offset:13056                        // 000000005DAC: D81A3300 0000C40B
	ds_write_b32 v11, v197 offset:14112                        // 000000005DB4: D81A3720 0000C50B
	ds_write_b32 v11, v198 offset:13184                        // 000000005DBC: D81A3380 0000C60B
	ds_write_b32 v11, v199 offset:14240                        // 000000005DC4: D81A37A0 0000C70B
	s_waitcnt lgkmcnt(0)                                       // 000000005DCC: BF8CC07F
	s_barrier                                                  // 000000005DD0: BF8A0000
	ds_read_b128 a[128:131], v22                               // 000000005DD4: DBFE0000 80000016
	ds_read_b128 a[132:135], v22 offset:512                    // 000000005DDC: DBFE0200 84000016
	ds_read_b128 a[136:139], v22 offset:2176                   // 000000005DE4: DBFE0880 88000016
	ds_read_b128 a[140:143], v22 offset:2688                   // 000000005DEC: DBFE0A80 8C000016
	s_waitcnt vmcnt(8) lgkmcnt(0)                              // 000000005DF4: BF8C0078
	s_barrier                                                  // 000000005DF8: BF8A0000
	buffer_load_dword v9, s[24:27], 0 idxen lds                // 000000005DFC: E0512000 80060009
	s_mov_b32 m0, s75                                          // 000000005E04: BEFC004B
	v_add_u32_e32 v9, s69, v9                                  // 000000005E08: 68121245
	v_perm_b32 v84, v33, v32, s63                              // 000000005E0C: D1ED0054 00FE4121
	v_perm_b32 v85, v33, v32, s64                              // 000000005E14: D1ED0055 01024121
	v_perm_b32 v86, v35, v34, s63                              // 000000005E1C: D1ED0056 00FE4523
	v_perm_b32 v87, v35, v34, s64                              // 000000005E24: D1ED0057 01024523
	ds_write_b32 v13, v84 offset:4352                          // 000000005E2C: D81A1100 0000540D
	ds_write_b32 v13, v85 offset:5408                          // 000000005E34: D81A1520 0000550D
	ds_write_b32 v13, v86 offset:4480                          // 000000005E3C: D81A1180 0000560D
	ds_write_b32 v13, v87 offset:5536                          // 000000005E44: D81A15A0 0000570D
	ds_write_b32 v11, v32                                      // 000000005E4C: D81A0000 0000200B
	ds_write_b32 v11, v33 offset:1056                          // 000000005E54: D81A0420 0000210B
	ds_write_b32 v11, v34 offset:128                           // 000000005E5C: D81A0080 0000220B
	ds_write_b32 v11, v35 offset:1184                          // 000000005E64: D81A04A0 0000230B
	buffer_load_dword v9, s[24:27], 0 idxen lds                // 000000005E6C: E0512000 80060009
	s_mov_b32 m0, s74                                          // 000000005E74: BEFC004A
	v_add_u32_e32 v9, s69, v9                                  // 000000005E78: 68121245
	v_perm_b32 v88, v41, v40, s63                              // 000000005E7C: D1ED0058 00FE5129
	v_perm_b32 v89, v41, v40, s64                              // 000000005E84: D1ED0059 01025129
	v_perm_b32 v90, v43, v42, s63                              // 000000005E8C: D1ED005A 00FE552B
	v_perm_b32 v91, v43, v42, s64                              // 000000005E94: D1ED005B 0102552B
	ds_write_b32 v13, v88 offset:13056                         // 000000005E9C: D81A3300 0000580D
	ds_write_b32 v13, v89 offset:14112                         // 000000005EA4: D81A3720 0000590D
	ds_write_b32 v13, v90 offset:13184                         // 000000005EAC: D81A3380 00005A0D
	ds_write_b32 v13, v91 offset:14240                         // 000000005EB4: D81A37A0 00005B0D
	ds_write_b32 v11, v40 offset:8704                          // 000000005EBC: D81A2200 0000280B
	ds_write_b32 v11, v41 offset:9760                          // 000000005EC4: D81A2620 0000290B
	ds_write_b32 v11, v42 offset:8832                          // 000000005ECC: D81A2280 00002A0B
	ds_write_b32 v11, v43 offset:9888                          // 000000005ED4: D81A26A0 00002B0B
	s_waitcnt vmcnt(1) lgkmcnt(0)                              // 000000005EDC: BF8C0071
	s_barrier                                                  // 000000005EE0: BF8A0000
	ds_read_b128 a[144:147], v10                               // 000000005EE4: DBFE0000 9000000A
	ds_read_b128 a[148:151], v10 offset:512                    // 000000005EEC: DBFE0200 9400000A
	ds_read_b128 a[152:155], v10 offset:2176                   // 000000005EF4: DBFE0880 9800000A
	ds_read_b128 a[156:159], v10 offset:2688                   // 000000005EFC: DBFE0A80 9C00000A
	ds_read_b128 v[92:95], v10 offset:8704                     // 000000005F04: D9FE2200 5C00000A
	ds_read_b128 v[96:99], v10 offset:9216                     // 000000005F0C: D9FE2400 6000000A
	ds_read_b128 v[100:103], v10 offset:10880                  // 000000005F14: D9FE2A80 6400000A
	ds_read_b128 v[104:107], v10 offset:11392                  // 000000005F1C: D9FE2C80 6800000A
	ds_read_b32 v124, v21 offset:50688                         // 000000005F24: D86CC600 7C000015
	ds_read_b32 v150, v21 offset:50944                         // 000000005F2C: D86CC700 96000015
	v_accvgpr_write_b32 a160, 0                                // 000000005F34: D3D940A0 18000080
	v_mov_b32_e32 v152, 0                                      // 000000005F3C: 7F300280
	v_accvgpr_write_b32 a161, 0                                // 000000005F40: D3D940A1 18000080
	v_mov_b32_e32 v153, 0                                      // 000000005F48: 7F320280
	v_accvgpr_write_b32 a162, 0                                // 000000005F4C: D3D940A2 18000080
	v_mov_b32_e32 v154, 0                                      // 000000005F54: 7F340280
	v_accvgpr_write_b32 a163, 0                                // 000000005F58: D3D940A3 18000080
	v_mov_b32_e32 v155, 0                                      // 000000005F60: 7F360280
	v_accvgpr_write_b32 a164, 0                                // 000000005F64: D3D940A4 18000080
	v_mov_b32_e32 v156, 0                                      // 000000005F6C: 7F380280
	v_accvgpr_write_b32 a165, 0                                // 000000005F70: D3D940A5 18000080
	v_mov_b32_e32 v157, 0                                      // 000000005F78: 7F3A0280
	v_accvgpr_write_b32 a166, 0                                // 000000005F7C: D3D940A6 18000080
	v_mov_b32_e32 v158, 0                                      // 000000005F84: 7F3C0280
	v_accvgpr_write_b32 a167, 0                                // 000000005F88: D3D940A7 18000080
	v_mov_b32_e32 v159, 0                                      // 000000005F90: 7F3E0280
	v_accvgpr_write_b32 a168, 0                                // 000000005F94: D3D940A8 18000080
	v_mov_b32_e32 v160, 0                                      // 000000005F9C: 7F400280
	v_accvgpr_write_b32 a169, 0                                // 000000005FA0: D3D940A9 18000080
	v_mov_b32_e32 v161, 0                                      // 000000005FA8: 7F420280
	v_accvgpr_write_b32 a170, 0                                // 000000005FAC: D3D940AA 18000080
	v_mov_b32_e32 v162, 0                                      // 000000005FB4: 7F440280
	v_accvgpr_write_b32 a171, 0                                // 000000005FB8: D3D940AB 18000080
	v_mov_b32_e32 v163, 0                                      // 000000005FC0: 7F460280
	v_accvgpr_write_b32 a172, 0                                // 000000005FC4: D3D940AC 18000080
	v_mov_b32_e32 v164, 0                                      // 000000005FCC: 7F480280
	v_accvgpr_write_b32 a173, 0                                // 000000005FD0: D3D940AD 18000080
	v_mov_b32_e32 v165, 0                                      // 000000005FD8: 7F4A0280
	v_accvgpr_write_b32 a174, 0                                // 000000005FDC: D3D940AE 18000080
	v_mov_b32_e32 v166, 0                                      // 000000005FE4: 7F4C0280
	v_accvgpr_write_b32 a175, 0                                // 000000005FE8: D3D940AF 18000080
	v_mov_b32_e32 v167, 0                                      // 000000005FF0: 7F4E0280
	v_accvgpr_write_b32 a176, 0                                // 000000005FF4: D3D940B0 18000080
	v_mov_b32_e32 v168, 0                                      // 000000005FFC: 7F500280
	v_accvgpr_write_b32 a177, 0                                // 000000006000: D3D940B1 18000080
	v_mov_b32_e32 v169, 0                                      // 000000006008: 7F520280
	v_accvgpr_write_b32 a178, 0                                // 00000000600C: D3D940B2 18000080
	v_mov_b32_e32 v170, 0                                      // 000000006014: 7F540280
	v_accvgpr_write_b32 a179, 0                                // 000000006018: D3D940B3 18000080
	v_mov_b32_e32 v171, 0                                      // 000000006020: 7F560280
	v_accvgpr_write_b32 a180, 0                                // 000000006024: D3D940B4 18000080
	v_mov_b32_e32 v172, 0                                      // 00000000602C: 7F580280
	v_accvgpr_write_b32 a181, 0                                // 000000006030: D3D940B5 18000080
	v_mov_b32_e32 v173, 0                                      // 000000006038: 7F5A0280
	v_accvgpr_write_b32 a182, 0                                // 00000000603C: D3D940B6 18000080
	v_mov_b32_e32 v174, 0                                      // 000000006044: 7F5C0280
	v_accvgpr_write_b32 a183, 0                                // 000000006048: D3D940B7 18000080
	v_mov_b32_e32 v175, 0                                      // 000000006050: 7F5E0280
	v_accvgpr_write_b32 a184, 0                                // 000000006054: D3D940B8 18000080
	v_mov_b32_e32 v176, 0                                      // 00000000605C: 7F600280
	v_accvgpr_write_b32 a185, 0                                // 000000006060: D3D940B9 18000080
	v_mov_b32_e32 v177, 0                                      // 000000006068: 7F620280
	v_accvgpr_write_b32 a186, 0                                // 00000000606C: D3D940BA 18000080
	v_mov_b32_e32 v178, 0                                      // 000000006074: 7F640280
	v_accvgpr_write_b32 a187, 0                                // 000000006078: D3D940BB 18000080
	v_mov_b32_e32 v179, 0                                      // 000000006080: 7F660280
	v_accvgpr_write_b32 a188, 0                                // 000000006084: D3D940BC 18000080
	v_mov_b32_e32 v180, 0                                      // 00000000608C: 7F680280
	v_accvgpr_write_b32 a189, 0                                // 000000006090: D3D940BD 18000080
	v_mov_b32_e32 v181, 0                                      // 000000006098: 7F6A0280
	v_accvgpr_write_b32 a190, 0                                // 00000000609C: D3D940BE 18000080
	v_mov_b32_e32 v182, 0                                      // 0000000060A4: 7F6C0280
	v_accvgpr_write_b32 a191, 0                                // 0000000060A8: D3D940BF 18000080
	v_mov_b32_e32 v183, 0                                      // 0000000060B0: 7F6E0280
	v_accvgpr_write_b32 a192, 0                                // 0000000060B4: D3D940C0 18000080
	v_mov_b32_e32 v184, 0                                      // 0000000060BC: 7F700280
	v_accvgpr_write_b32 a193, 0                                // 0000000060C0: D3D940C1 18000080
	v_mov_b32_e32 v185, 0                                      // 0000000060C8: 7F720280
	v_accvgpr_write_b32 a194, 0                                // 0000000060CC: D3D940C2 18000080
	v_mov_b32_e32 v186, 0                                      // 0000000060D4: 7F740280
	v_accvgpr_write_b32 a195, 0                                // 0000000060D8: D3D940C3 18000080
	v_mov_b32_e32 v187, 0                                      // 0000000060E0: 7F760280
	v_accvgpr_write_b32 a196, 0                                // 0000000060E4: D3D940C4 18000080
	v_mov_b32_e32 v188, 0                                      // 0000000060EC: 7F780280
	v_accvgpr_write_b32 a197, 0                                // 0000000060F0: D3D940C5 18000080
	v_mov_b32_e32 v189, 0                                      // 0000000060F8: 7F7A0280
	v_accvgpr_write_b32 a198, 0                                // 0000000060FC: D3D940C6 18000080
	v_mov_b32_e32 v190, 0                                      // 000000006104: 7F7C0280
	v_accvgpr_write_b32 a199, 0                                // 000000006108: D3D940C7 18000080
	v_mov_b32_e32 v191, 0                                      // 000000006110: 7F7E0280
	v_accvgpr_write_b32 a200, 0                                // 000000006114: D3D940C8 18000080
	v_mov_b32_e32 v192, 0                                      // 00000000611C: 7F800280
	v_accvgpr_write_b32 a201, 0                                // 000000006120: D3D940C9 18000080
	v_mov_b32_e32 v193, 0                                      // 000000006128: 7F820280
	v_accvgpr_write_b32 a202, 0                                // 00000000612C: D3D940CA 18000080
	v_mov_b32_e32 v194, 0                                      // 000000006134: 7F840280
	v_accvgpr_write_b32 a203, 0                                // 000000006138: D3D940CB 18000080
	v_mov_b32_e32 v195, 0                                      // 000000006140: 7F860280
	v_accvgpr_write_b32 a204, 0                                // 000000006144: D3D940CC 18000080
	v_mov_b32_e32 v196, 0                                      // 00000000614C: 7F880280
	v_accvgpr_write_b32 a205, 0                                // 000000006150: D3D940CD 18000080
	v_mov_b32_e32 v197, 0                                      // 000000006158: 7F8A0280
	v_accvgpr_write_b32 a206, 0                                // 00000000615C: D3D940CE 18000080
	v_mov_b32_e32 v198, 0                                      // 000000006164: 7F8C0280
	v_accvgpr_write_b32 a207, 0                                // 000000006168: D3D940CF 18000080
	v_mov_b32_e32 v199, 0                                      // 000000006170: 7F8E0280
	v_accvgpr_write_b32 a208, 0                                // 000000006174: D3D940D0 18000080
	v_mov_b32_e32 v200, 0                                      // 00000000617C: 7F900280
	v_accvgpr_write_b32 a209, 0                                // 000000006180: D3D940D1 18000080
	v_mov_b32_e32 v201, 0                                      // 000000006188: 7F920280
	v_accvgpr_write_b32 a210, 0                                // 00000000618C: D3D940D2 18000080
	v_mov_b32_e32 v202, 0                                      // 000000006194: 7F940280
	v_accvgpr_write_b32 a211, 0                                // 000000006198: D3D940D3 18000080
	v_mov_b32_e32 v203, 0                                      // 0000000061A0: 7F960280
	v_accvgpr_write_b32 a212, 0                                // 0000000061A4: D3D940D4 18000080
	v_mov_b32_e32 v204, 0                                      // 0000000061AC: 7F980280
	v_accvgpr_write_b32 a213, 0                                // 0000000061B0: D3D940D5 18000080
	v_mov_b32_e32 v205, 0                                      // 0000000061B8: 7F9A0280
	v_accvgpr_write_b32 a214, 0                                // 0000000061BC: D3D940D6 18000080
	v_mov_b32_e32 v206, 0                                      // 0000000061C4: 7F9C0280
	v_accvgpr_write_b32 a215, 0                                // 0000000061C8: D3D940D7 18000080
	v_mov_b32_e32 v207, 0                                      // 0000000061D0: 7F9E0280
	v_accvgpr_write_b32 a216, 0                                // 0000000061D4: D3D940D8 18000080
	v_mov_b32_e32 v208, 0                                      // 0000000061DC: 7FA00280
	v_accvgpr_write_b32 a217, 0                                // 0000000061E0: D3D940D9 18000080
	v_mov_b32_e32 v209, 0                                      // 0000000061E8: 7FA20280
	v_accvgpr_write_b32 a218, 0                                // 0000000061EC: D3D940DA 18000080
	v_mov_b32_e32 v210, 0                                      // 0000000061F4: 7FA40280
	v_accvgpr_write_b32 a219, 0                                // 0000000061F8: D3D940DB 18000080
	v_mov_b32_e32 v211, 0                                      // 000000006200: 7FA60280
	v_accvgpr_write_b32 a220, 0                                // 000000006204: D3D940DC 18000080
	v_mov_b32_e32 v212, 0                                      // 00000000620C: 7FA80280
	v_accvgpr_write_b32 a221, 0                                // 000000006210: D3D940DD 18000080
	v_mov_b32_e32 v213, 0                                      // 000000006218: 7FAA0280
	v_accvgpr_write_b32 a222, 0                                // 00000000621C: D3D940DE 18000080
	v_mov_b32_e32 v214, 0                                      // 000000006224: 7FAC0280
	v_accvgpr_write_b32 a223, 0                                // 000000006228: D3D940DF 18000080
	v_mov_b32_e32 v215, 0                                      // 000000006230: 7FAE0280
	v_accvgpr_write_b32 a224, 0                                // 000000006234: D3D940E0 18000080
	v_mov_b32_e32 v216, 0                                      // 00000000623C: 7FB00280
	v_accvgpr_write_b32 a225, 0                                // 000000006240: D3D940E1 18000080
	v_mov_b32_e32 v217, 0                                      // 000000006248: 7FB20280
	v_accvgpr_write_b32 a226, 0                                // 00000000624C: D3D940E2 18000080
	v_mov_b32_e32 v218, 0                                      // 000000006254: 7FB40280
	v_accvgpr_write_b32 a227, 0                                // 000000006258: D3D940E3 18000080
	v_mov_b32_e32 v219, 0                                      // 000000006260: 7FB60280
	v_accvgpr_write_b32 a228, 0                                // 000000006264: D3D940E4 18000080
	v_mov_b32_e32 v220, 0                                      // 00000000626C: 7FB80280
	v_accvgpr_write_b32 a229, 0                                // 000000006270: D3D940E5 18000080
	v_mov_b32_e32 v221, 0                                      // 000000006278: 7FBA0280
	v_accvgpr_write_b32 a230, 0                                // 00000000627C: D3D940E6 18000080
	v_mov_b32_e32 v222, 0                                      // 000000006284: 7FBC0280
	v_accvgpr_write_b32 a231, 0                                // 000000006288: D3D940E7 18000080
	v_mov_b32_e32 v223, 0                                      // 000000006290: 7FBE0280
	v_accvgpr_write_b32 a232, 0                                // 000000006294: D3D940E8 18000080
	v_mov_b32_e32 v224, 0                                      // 00000000629C: 7FC00280
	v_accvgpr_write_b32 a233, 0                                // 0000000062A0: D3D940E9 18000080
	v_mov_b32_e32 v225, 0                                      // 0000000062A8: 7FC20280
	v_accvgpr_write_b32 a234, 0                                // 0000000062AC: D3D940EA 18000080
	v_mov_b32_e32 v226, 0                                      // 0000000062B4: 7FC40280
	v_accvgpr_write_b32 a235, 0                                // 0000000062B8: D3D940EB 18000080
	v_mov_b32_e32 v227, 0                                      // 0000000062C0: 7FC60280
	v_accvgpr_write_b32 a236, 0                                // 0000000062C4: D3D940EC 18000080
	v_mov_b32_e32 v228, 0                                      // 0000000062CC: 7FC80280
	v_accvgpr_write_b32 a237, 0                                // 0000000062D0: D3D940ED 18000080
	v_mov_b32_e32 v229, 0                                      // 0000000062D8: 7FCA0280
	v_accvgpr_write_b32 a238, 0                                // 0000000062DC: D3D940EE 18000080
	v_mov_b32_e32 v230, 0                                      // 0000000062E4: 7FCC0280
	v_accvgpr_write_b32 a239, 0                                // 0000000062E8: D3D940EF 18000080
	v_mov_b32_e32 v231, 0                                      // 0000000062F0: 7FCE0280
	v_accvgpr_write_b32 a240, 0                                // 0000000062F4: D3D940F0 18000080
	v_mov_b32_e32 v232, 0                                      // 0000000062FC: 7FD00280
	v_accvgpr_write_b32 a241, 0                                // 000000006300: D3D940F1 18000080
	v_mov_b32_e32 v233, 0                                      // 000000006308: 7FD20280
	v_accvgpr_write_b32 a242, 0                                // 00000000630C: D3D940F2 18000080
	v_mov_b32_e32 v234, 0                                      // 000000006314: 7FD40280
	v_accvgpr_write_b32 a243, 0                                // 000000006318: D3D940F3 18000080
	v_mov_b32_e32 v235, 0                                      // 000000006320: 7FD60280
	v_accvgpr_write_b32 a244, 0                                // 000000006324: D3D940F4 18000080
	v_mov_b32_e32 v236, 0                                      // 00000000632C: 7FD80280
	v_accvgpr_write_b32 a245, 0                                // 000000006330: D3D940F5 18000080
	v_mov_b32_e32 v237, 0                                      // 000000006338: 7FDA0280
	v_accvgpr_write_b32 a246, 0                                // 00000000633C: D3D940F6 18000080
	v_mov_b32_e32 v238, 0                                      // 000000006344: 7FDC0280
	v_accvgpr_write_b32 a247, 0                                // 000000006348: D3D940F7 18000080
	v_mov_b32_e32 v239, 0                                      // 000000006350: 7FDE0280
	v_accvgpr_write_b32 a248, 0                                // 000000006354: D3D940F8 18000080
	v_mov_b32_e32 v240, 0                                      // 00000000635C: 7FE00280
	v_accvgpr_write_b32 a249, 0                                // 000000006360: D3D940F9 18000080
	v_mov_b32_e32 v241, 0                                      // 000000006368: 7FE20280
	v_accvgpr_write_b32 a250, 0                                // 00000000636C: D3D940FA 18000080
	v_mov_b32_e32 v242, 0                                      // 000000006374: 7FE40280
	v_accvgpr_write_b32 a251, 0                                // 000000006378: D3D940FB 18000080
	v_mov_b32_e32 v243, 0                                      // 000000006380: 7FE60280
	v_accvgpr_write_b32 a252, 0                                // 000000006384: D3D940FC 18000080
	v_mov_b32_e32 v244, 0                                      // 00000000638C: 7FE80280
	v_accvgpr_write_b32 a253, 0                                // 000000006390: D3D940FD 18000080
	v_mov_b32_e32 v245, 0                                      // 000000006398: 7FEA0280
	v_accvgpr_write_b32 a254, 0                                // 00000000639C: D3D940FE 18000080
	v_mov_b32_e32 v246, 0                                      // 0000000063A4: 7FEC0280
	v_accvgpr_write_b32 a255, 0                                // 0000000063A8: D3D940FF 18000080
	v_mov_b32_e32 v247, 0                                      // 0000000063B0: 7FEE0280
	v_mov_b32_e32 v136, 0                                      // 0000000063B4: 7F100280
	v_mov_b32_e32 v137, 0                                      // 0000000063B8: 7F120280
	v_mov_b32_e32 v138, 0                                      // 0000000063BC: 7F140280
	v_mov_b32_e32 v139, 0                                      // 0000000063C0: 7F160280
	v_mov_b32_e32 v140, 0                                      // 0000000063C4: 7F180280
	v_mov_b32_e32 v141, 0                                      // 0000000063C8: 7F1A0280
	v_mov_b32_e32 v142, 0                                      // 0000000063CC: 7F1C0280
	v_mov_b32_e32 v143, 0                                      // 0000000063D0: 7F1E0280
	v_mov_b32_e32 v128, 0                                      // 0000000063D4: 7F000280
	v_mov_b32_e32 v129, 0                                      // 0000000063D8: 7F020280
	v_mov_b32_e32 v130, 0                                      // 0000000063DC: 7F040280
	v_mov_b32_e32 v131, 0                                      // 0000000063E0: 7F060280
	v_mov_b32_e32 v132, 0                                      // 0000000063E4: 7F080280
	v_mov_b32_e32 v133, 0                                      // 0000000063E8: 7F0A0280
	v_mov_b32_e32 v134, 0                                      // 0000000063EC: 7F0C0280
	v_mov_b32_e32 v135, 0                                      // 0000000063F0: 7F0E0280
	s_waitcnt lgkmcnt(0)                                       // 0000000063F4: BF8CC07F
	s_barrier                                                  // 0000000063F8: BF8A0000
	v_mov_b32_e32 v32, 0                                       // 0000000063FC: 7E400280
	s_mov_b64 exec, s[76:77]                                   // 000000006400: BEFE014C
	buffer_load_dword v32, v1, s[8:11], 0 idxen                // 000000006404: E0502000 80022001
	s_mov_b64 exec, s[84:85]                                   // 00000000640C: BEFE0154
	v_mov_b32_e32 v33, 0                                       // 000000006410: 7E420280
	s_mov_b64 exec, s[76:77]                                   // 000000006414: BEFE014C
	buffer_load_dword v33, v2, s[8:11], 0 idxen                // 000000006418: E0502000 80022102
	s_mov_b64 exec, s[84:85]                                   // 000000006420: BEFE0154
	v_mov_b32_e32 v34, 0                                       // 000000006424: 7E440280
	s_mov_b64 exec, s[76:77]                                   // 000000006428: BEFE014C
	buffer_load_dword v34, v3, s[8:11], 0 idxen                // 00000000642C: E0502000 80022203
	s_mov_b64 exec, s[84:85]                                   // 000000006434: BEFE0154
	v_mov_b32_e32 v35, 0                                       // 000000006438: 7E460280
	s_mov_b64 exec, s[76:77]                                   // 00000000643C: BEFE014C
	buffer_load_dword v35, v4, s[8:11], 0 idxen                // 000000006440: E0502000 80022304
	s_mov_b64 exec, s[84:85]                                   // 000000006448: BEFE0154
	v_mov_b32_e32 v40, 0                                       // 00000000644C: 7E500280
	s_mov_b64 exec, s[76:77]                                   // 000000006450: BEFE014C
	buffer_load_dword v40, v248, s[20:23], 0 idxen             // 000000006454: E0502000 800528F8
	s_mov_b64 exec, s[84:85]                                   // 00000000645C: BEFE0154
	v_mov_b32_e32 v41, 0                                       // 000000006460: 7E520280
	s_mov_b64 exec, s[76:77]                                   // 000000006464: BEFE014C
	buffer_load_dword v41, v249, s[20:23], 0 idxen             // 000000006468: E0502000 800529F9
	s_mov_b64 exec, s[84:85]                                   // 000000006470: BEFE0154
	v_mov_b32_e32 v42, 0                                       // 000000006474: 7E540280
	s_mov_b64 exec, s[76:77]                                   // 000000006478: BEFE014C
	buffer_load_dword v42, v250, s[20:23], 0 idxen             // 00000000647C: E0502000 80052AFA
	s_mov_b64 exec, s[84:85]                                   // 000000006484: BEFE0154
	v_mov_b32_e32 v43, 0                                       // 000000006488: 7E560280
	s_mov_b64 exec, s[76:77]                                   // 00000000648C: BEFE014C
	buffer_load_dword v43, v251, s[20:23], 0 idxen             // 000000006490: E0502000 80052BFB
	s_mov_b64 exec, s[84:85]                                   // 000000006498: BEFE0154
	buffer_load_dword v9, s[24:27], 0 idxen lds                // 00000000649C: E0512000 80060009
	s_mov_b32 m0, s75                                          // 0000000064A4: BEFC004B
	v_add_u32_e32 v9, s69, v9                                  // 0000000064A8: 68121245
	v_add_u32_e32 v1, s68, v1                                  // 0000000064AC: 68020244
	v_add_u32_e32 v2, s68, v2                                  // 0000000064B0: 68040444
	v_add_u32_e32 v3, s68, v3                                  // 0000000064B4: 68060644
	v_add_u32_e32 v4, s68, v4                                  // 0000000064B8: 68080844
	v_add_u32_e32 v248, s101, v248                             // 0000000064BC: 69F1F065
	v_add_u32_e32 v249, s101, v249                             // 0000000064C0: 69F3F265
	v_add_u32_e32 v250, s101, v250                             // 0000000064C4: 69F5F465
	v_add_u32_e32 v251, s101, v251                             // 0000000064C8: 69F7F665
	v_mul_f32_e32 v124, s48, v124                              // 0000000064CC: 0AF8F830
	v_perm_b32 v84, v37, v36, s63                              // 0000000064D0: D1ED0054 00FE4925
	v_perm_b32 v85, v37, v36, s64                              // 0000000064D8: D1ED0055 01024925
	v_perm_b32 v86, v39, v38, s63                              // 0000000064E0: D1ED0056 00FE4D27
	v_perm_b32 v87, v39, v38, s64                              // 0000000064E8: D1ED0057 01024D27
	v_perm_b32 v88, v45, v44, s63                              // 0000000064F0: D1ED0058 00FE592D
	v_perm_b32 v89, v45, v44, s64                              // 0000000064F8: D1ED0059 0102592D
	v_perm_b32 v90, v47, v46, s63                              // 000000006500: D1ED005A 00FE5D2F
	v_perm_b32 v91, v47, v46, s64                              // 000000006508: D1ED005B 01025D2F
	v_mov_b32_dpp v127, v124 quad_perm:[3,3,3,3] row_mask:0xf bank_mask:0xf// 000000006510: 7EFE02FA FF00FF7C
	v_mov_b32_dpp v126, v124 quad_perm:[2,2,2,2] row_mask:0xf bank_mask:0xf// 000000006518: 7EFC02FA FF00AA7C
	v_mov_b32_dpp v125, v124 quad_perm:[1,1,1,1] row_mask:0xf bank_mask:0xf// 000000006520: 7EFA02FA FF00557C
	v_mov_b32_dpp v124, v124 quad_perm:[0,0,0,0] row_mask:0xf bank_mask:0xf// 000000006528: 7EF802FA FF00007C
	s_waitcnt vmcnt(9)                                         // 000000006530: BF8C0F79
	s_barrier                                                  // 000000006534: BF8A0000
	s_cmp_lt_i32 s46, 2                                        // 000000006538: BF04822E
	s_cbranch_scc0 label_0F2A                                  // 00000000653C: BF840550
	s_nop 0                                                    // 000000006540: BF800000
	s_nop 0                                                    // 000000006544: BF800000

0000000000006548 <label_09D2>:
	s_waitcnt lgkmcnt(0)                                       // 000000006548: BF8CC07F
	s_barrier                                                  // 00000000654C: BF8A0000
	v_mfma_f32_16x16x16_f16 v[48:51], a[144:145], a[0:1], 0    // 000000006550: D3CD0030 1A020190
	ds_write_b32 v11, v44 offset:8704                          // 000000006558: D81A2200 00002C0B
	ds_write_b32 v11, v45 offset:9760                          // 000000006560: D81A2620 00002D0B
	v_mfma_f32_16x16x16_f16 v[48:51], a[146:147], a[2:3], v[48:51]// 000000006568: D3CD0030 1CC20592
	v_mul_f32_e32 v128, s47, v128                              // 000000006570: 0B01002F
	v_mul_f32_e32 v129, s47, v129                              // 000000006574: 0B03022F
	v_mfma_f32_16x16x16_f16 v[48:51], a[148:149], a[4:5], v[48:51]// 000000006578: D3CD0030 1CC20994
	ds_write_b32 v11, v46 offset:8832                          // 000000006580: D81A2280 00002E0B
	ds_write_b32 v11, v47 offset:9888                          // 000000006588: D81A26A0 00002F0B
	v_mfma_f32_16x16x16_f16 v[48:51], a[150:151], a[6:7], v[48:51]// 000000006590: D3CD0030 1CC20D96
	v_mul_f32_e32 v130, s47, v130                              // 000000006598: 0B05042F
	v_mul_f32_e32 v131, s47, v131                              // 00000000659C: 0B07062F
	v_mfma_f32_16x16x16_f16 v[48:51], a[152:153], a[8:9], v[48:51]// 0000000065A0: D3CD0030 1CC21198
	ds_write_b64 v20, v[128:129] offset:24320                  // 0000000065A8: D89A5F00 00008014
	v_mfma_f32_16x16x16_f16 v[48:51], a[154:155], a[10:11], v[48:51]// 0000000065B0: D3CD0030 1CC2159A
	v_mul_f32_e32 v132, s47, v132                              // 0000000065B8: 0B09082F
	v_mul_f32_e32 v133, s47, v133                              // 0000000065BC: 0B0B0A2F
	v_mfma_f32_16x16x16_f16 v[48:51], a[156:157], a[12:13], v[48:51]// 0000000065C0: D3CD0030 1CC2199C
	ds_write_b64 v20, v[130:131] offset:24832                  // 0000000065C8: D89A6100 00008214
	v_mfma_f32_16x16x16_f16 v[48:51], a[158:159], a[14:15], v[48:51]// 0000000065D0: D3CD0030 1CC21D9E
	v_mul_f32_e32 v134, s47, v134                              // 0000000065D8: 0B0D0C2F
	v_mul_f32_e32 v135, s47, v135                              // 0000000065DC: 0B0F0E2F
	v_mfma_f32_16x16x16_f16 v[52:55], a[144:145], a[16:17], 0  // 0000000065E0: D3CD0034 1A022190
	ds_write_b64 v20, v[132:133] offset:25344                  // 0000000065E8: D89A6300 00008414
	v_mfma_f32_16x16x16_f16 v[52:55], a[146:147], a[18:19], v[52:55]// 0000000065F0: D3CD0034 1CD22592
	buffer_atomic_add_f32 v140, v7, s[32:35], 0 offen offset:256// 0000000065F8: E1341100 80088C07
	v_mfma_f32_16x16x16_f16 v[52:55], a[148:149], a[20:21], v[52:55]// 000000006600: D3CD0034 1CD22994
	ds_write_b64 v20, v[134:135] offset:25856                  // 000000006608: D89A6500 00008614
	v_mfma_f32_16x16x16_f16 v[52:55], a[150:151], a[22:23], v[52:55]// 000000006610: D3CD0034 1CD22D96
	v_mfma_f32_16x16x16_f16 v[52:55], a[152:153], a[24:25], v[52:55]// 000000006618: D3CD0034 1CD23198
	ds_read_b128 v[108:111], v12 offset:13056                  // 000000006620: D9FE3300 6C00000C
	ds_write_b32 v11, v36                                      // 000000006628: D81A0000 0000240B
	v_mfma_f32_16x16x16_f16 v[52:55], a[154:155], a[26:27], v[52:55]// 000000006630: D3CD0034 1CD2359A
	buffer_atomic_add_f32 v141, v8, s[32:35], 0 offen offset:256// 000000006638: E1341100 80088D08
	v_mfma_f32_16x16x16_f16 v[52:55], a[156:157], a[28:29], v[52:55]// 000000006640: D3CD0034 1CD2399C
	v_mfma_f32_16x16x16_f16 v[52:55], a[158:159], a[30:31], v[52:55]// 000000006648: D3CD0034 1CD23D9E
	ds_read_b128 v[112:115], v12 offset:13568                  // 000000006650: D9FE3500 7000000C
	ds_write_b32 v11, v37 offset:1056                          // 000000006658: D81A0420 0000250B
	v_mfma_f32_16x16x16_f16 v[56:59], a[144:145], a[32:33], 0  // 000000006660: D3CD0038 1A024190
	buffer_atomic_add_f32 v142, v7, s[32:35], 0 offen offset:384// 000000006668: E1341180 80088E07
	v_mfma_f32_16x16x16_f16 v[56:59], a[146:147], a[34:35], v[56:59]// 000000006670: D3CD0038 1CE24592
	v_mfma_f32_16x16x16_f16 v[56:59], a[148:149], a[36:37], v[56:59]// 000000006678: D3CD0038 1CE24994
	ds_read_b128 v[116:119], v12 offset:15232                  // 000000006680: D9FE3B80 7400000C
	ds_write_b32 v11, v38 offset:128                           // 000000006688: D81A0080 0000260B
	v_mfma_f32_16x16x16_f16 v[56:59], a[150:151], a[38:39], v[56:59]// 000000006690: D3CD0038 1CE24D96
	v_mfma_f32_16x16x16_f16 v[56:59], a[152:153], a[40:41], v[56:59]// 000000006698: D3CD0038 1CE25198
	buffer_atomic_add_f32 v143, v8, s[32:35], 0 offen offset:384// 0000000066A0: E1341180 80088F08
	v_mfma_f32_16x16x16_f16 v[56:59], a[154:155], a[42:43], v[56:59]// 0000000066A8: D3CD0038 1CE2559A
	ds_read_b128 v[120:123], v12 offset:15744                  // 0000000066B0: D9FE3D80 7800000C
	ds_write_b32 v11, v39 offset:1184                          // 0000000066B8: D81A04A0 0000270B
	v_mfma_f32_16x16x16_f16 v[56:59], a[156:157], a[44:45], v[56:59]// 0000000066C0: D3CD0038 1CE2599C
	v_mfma_f32_16x16x16_f16 v[56:59], a[158:159], a[46:47], v[56:59]// 0000000066C8: D3CD0038 1CE25D9E
	s_cmp_lt_i32 s81, 0xc0                                     // 0000000066D0: BF04FF51 000000C0
	s_cbranch_scc0 label_0A89                                  // 0000000066D8: BF84004D
	s_cmp_le_i32 s81, 64                                       // 0000000066DC: BF05C051
	s_cbranch_scc1 label_0A40                                  // 0000000066E0: BF850007
	s_cmp_le_i32 s81, 0x80                                     // 0000000066E4: BF05FF51 00000080
	s_cbranch_scc1 label_0A58                                  // 0000000066EC: BF850017
	s_cmp_lt_i32 s81, 0xc0                                     // 0000000066F0: BF04FF51 000000C0
	s_cbranch_scc1 label_0A70                                  // 0000000066F8: BF85002C
	s_branch label_0A89                                        // 0000000066FC: BF820044

0000000000006700 <label_0A40>:
	s_mov_b32 s60, 0                                           // 000000006700: BEBC0080
	v_and_b32_e32 v28, 15, v0                                  // 000000006704: 2638008F
	v_add_u32_e64 v28, v28, s60                                // 000000006708: D134001C 0000791C
	v_mul_i32_i24_e64 v29, s46, 16                             // 000000006710: D106001D 0001202E
	v_add_u32_e32 v28, v28, v29                                // 000000006718: 68383B1C
	v_cmp_lt_u32_e64 s[60:61], v28, s81                        // 00000000671C: D0C9003C 0000A31C
	s_nop 1                                                    // 000000006724: BF800001
	v_cndmask_b32_e64 v48, v151, v48, s[60:61]                 // 000000006728: D1000030 00F26197
	v_cndmask_b32_e64 v49, v151, v49, s[60:61]                 // 000000006730: D1000031 00F26397
	v_cndmask_b32_e64 v50, v151, v50, s[60:61]                 // 000000006738: D1000032 00F26597
	v_cndmask_b32_e64 v51, v151, v51, s[60:61]                 // 000000006740: D1000033 00F26797
	s_branch label_0A6B                                        // 000000006748: BF820013

000000000000674c <label_0A58>:
	s_mov_b32 s60, 64                                          // 00000000674C: BEBC00C0
	v_and_b32_e32 v28, 15, v0                                  // 000000006750: 2638008F
	v_add_u32_e64 v28, v28, s60                                // 000000006754: D134001C 0000791C
	v_mul_i32_i24_e64 v29, s46, 16                             // 00000000675C: D106001D 0001202E
	v_add_u32_e32 v28, v28, v29                                // 000000006764: 68383B1C
	v_cmp_lt_u32_e64 s[60:61], v28, s81                        // 000000006768: D0C9003C 0000A31C
	s_nop 1                                                    // 000000006770: BF800001
	v_cndmask_b32_e64 v52, v151, v52, s[60:61]                 // 000000006774: D1000034 00F26997
	v_cndmask_b32_e64 v53, v151, v53, s[60:61]                 // 00000000677C: D1000035 00F26B97
	v_cndmask_b32_e64 v54, v151, v54, s[60:61]                 // 000000006784: D1000036 00F26D97
	v_cndmask_b32_e64 v55, v151, v55, s[60:61]                 // 00000000678C: D1000037 00F26F97
	s_branch label_0A84                                        // 000000006794: BF820019

0000000000006798 <label_0A6B>:
	v_mov_b32_e32 v52, v151                                    // 000000006798: 7E680397
	v_mov_b32_e32 v53, v151                                    // 00000000679C: 7E6A0397
	v_mov_b32_e32 v54, v151                                    // 0000000067A0: 7E6C0397
	v_mov_b32_e32 v55, v151                                    // 0000000067A4: 7E6E0397
	s_branch label_0A84                                        // 0000000067A8: BF820014

00000000000067ac <label_0A70>:
	s_mov_b32 s60, 0x80                                        // 0000000067AC: BEBC00FF 00000080
	v_and_b32_e32 v28, 15, v0                                  // 0000000067B4: 2638008F
	v_add_u32_e64 v28, v28, s60                                // 0000000067B8: D134001C 0000791C
	v_mul_i32_i24_e64 v29, s46, 16                             // 0000000067C0: D106001D 0001202E
	v_add_u32_e32 v28, v28, v29                                // 0000000067C8: 68383B1C
	v_cmp_lt_u32_e64 s[60:61], v28, s81                        // 0000000067CC: D0C9003C 0000A31C
	s_nop 1                                                    // 0000000067D4: BF800001
	v_cndmask_b32_e64 v56, v151, v56, s[60:61]                 // 0000000067D8: D1000038 00F27197
	v_cndmask_b32_e64 v57, v151, v57, s[60:61]                 // 0000000067E0: D1000039 00F27397
	v_cndmask_b32_e64 v58, v151, v58, s[60:61]                 // 0000000067E8: D100003A 00F27597
	v_cndmask_b32_e64 v59, v151, v59, s[60:61]                 // 0000000067F0: D100003B 00F27797
	s_branch label_0A89                                        // 0000000067F8: BF820005

00000000000067fc <label_0A84>:
	v_mov_b32_e32 v56, v151                                    // 0000000067FC: 7E700397
	v_mov_b32_e32 v57, v151                                    // 000000006800: 7E720397
	v_mov_b32_e32 v58, v151                                    // 000000006804: 7E740397
	v_mov_b32_e32 v59, v151                                    // 000000006808: 7E760397
	s_branch label_0A89                                        // 00000000680C: BF820000

0000000000006810 <label_0A89>:
	s_waitcnt lgkmcnt(8)                                       // 000000006810: BF8CC87F
	s_barrier                                                  // 000000006814: BF8A0000
	v_mfma_f32_16x16x16_f16 v[72:75], v[92:93], a[96:97], 0    // 000000006818: D3CD0048 1202C15C
	ds_read_b128 a[144:147], v12 offset:4352                   // 000000006820: DBFE1100 9000000C
	ds_read_b128 a[148:151], v12 offset:4864                   // 000000006828: DBFE1300 9400000C
	v_mfma_f32_16x16x16_f16 v[72:75], v[94:95], a[98:99], v[72:75]// 000000006830: D3CD0048 1522C55E
	v_fma_f32 v48, v48, s57, -v124                             // 000000006838: D1CB0030 85F07330
	v_fma_f32 v49, v49, s57, -v125                             // 000000006840: D1CB0031 85F47331
	v_fma_f32 v50, v50, s57, -v126                             // 000000006848: D1CB0032 85F87332
	v_mfma_f32_16x16x16_f16 v[72:75], v[96:97], a[100:101], v[72:75]// 000000006850: D3CD0048 1522C960
	v_fma_f32 v51, v51, s57, -v127                             // 000000006858: D1CB0033 85FC7333
	v_fma_f32 v52, v52, s57, -v124                             // 000000006860: D1CB0034 85F07334
	v_fma_f32 v53, v53, s57, -v125                             // 000000006868: D1CB0035 85F47335
	v_mfma_f32_16x16x16_f16 v[72:75], v[98:99], a[102:103], v[72:75]// 000000006870: D3CD0048 1522CD62
	v_fma_f32 v54, v54, s57, -v126                             // 000000006878: D1CB0036 85F87336
	v_fma_f32 v55, v55, s57, -v127                             // 000000006880: D1CB0037 85FC7337
	v_fma_f32 v56, v56, s57, -v124                             // 000000006888: D1CB0038 85F07338
	v_mfma_f32_16x16x16_f16 v[72:75], v[100:101], a[104:105], v[72:75]// 000000006890: D3CD0048 1522D164
	ds_read_b128 a[152:155], v12 offset:6528                   // 000000006898: DBFE1980 9800000C
	ds_read_b128 a[156:159], v12 offset:7040                   // 0000000068A0: DBFE1B80 9C00000C
	v_mfma_f32_16x16x16_f16 v[72:75], v[102:103], a[106:107], v[72:75]// 0000000068A8: D3CD0048 1522D566
	v_fma_f32 v57, v57, s57, -v125                             // 0000000068B0: D1CB0039 85F47339
	v_fma_f32 v58, v58, s57, -v126                             // 0000000068B8: D1CB003A 85F8733A
	v_fma_f32 v59, v59, s57, -v127                             // 0000000068C0: D1CB003B 85FC733B
	v_mfma_f32_16x16x16_f16 v[72:75], v[104:105], a[108:109], v[72:75]// 0000000068C8: D3CD0048 1522D968
	v_exp_f32_e32 v48, v48                                     // 0000000068D0: 7E604130
	v_mfma_f32_16x16x16_f16 v[72:75], v[106:107], a[110:111], v[72:75]// 0000000068D4: D3CD0048 1522DD6A
	v_exp_f32_e32 v49, v49                                     // 0000000068DC: 7E624131
	v_mfma_f32_16x16x16_f16 v[76:79], v[92:93], a[112:113], 0  // 0000000068E0: D3CD004C 1202E15C
	ds_read_b64 v[136:137], v19 offset:24320                   // 0000000068E8: D8EC5F00 88000013
	ds_read_b64 v[138:139], v19 offset:26368                   // 0000000068F0: D8EC6700 8A000013
	v_mfma_f32_16x16x16_f16 v[76:79], v[94:95], a[114:115], v[76:79]// 0000000068F8: D3CD004C 1532E55E
	v_exp_f32_e32 v50, v50                                     // 000000006900: 7E644132
	v_mfma_f32_16x16x16_f16 v[76:79], v[96:97], a[116:117], v[76:79]// 000000006904: D3CD004C 1532E960
	ds_read_b64 v[140:141], v19 offset:28416                   // 00000000690C: D8EC6F00 8C000013
	ds_read_b64 v[142:143], v19 offset:30464                   // 000000006914: D8EC7700 8E000013
	v_mfma_f32_16x16x16_f16 v[76:79], v[98:99], a[118:119], v[76:79]// 00000000691C: D3CD004C 1532ED62
	v_exp_f32_e32 v51, v51                                     // 000000006924: 7E664133
	v_mfma_f32_16x16x16_f16 v[76:79], v[100:101], a[120:121], v[76:79]// 000000006928: D3CD004C 1532F164
	v_exp_f32_e32 v52, v52                                     // 000000006930: 7E684134
	v_mfma_f32_16x16x16_f16 v[76:79], v[102:103], a[122:123], v[76:79]// 000000006934: D3CD004C 1532F566
	v_exp_f32_e32 v53, v53                                     // 00000000693C: 7E6A4135
	v_mfma_f32_16x16x16_f16 v[76:79], v[104:105], a[124:125], v[76:79]// 000000006940: D3CD004C 1532F968
	v_exp_f32_e32 v54, v54                                     // 000000006948: 7E6C4136
	v_mfma_f32_16x16x16_f16 v[76:79], v[106:107], a[126:127], v[76:79]// 00000000694C: D3CD004C 1532FD6A
	v_exp_f32_e32 v55, v55                                     // 000000006954: 7E6E4137
	v_mfma_f32_16x16x16_f16 v[80:83], v[92:93], a[128:129], 0  // 000000006958: D3CD0050 1203015C
	v_exp_f32_e32 v56, v56                                     // 000000006960: 7E704138
	v_mfma_f32_16x16x16_f16 v[80:83], v[94:95], a[130:131], v[80:83]// 000000006964: D3CD0050 1543055E
	v_exp_f32_e32 v57, v57                                     // 00000000696C: 7E724139
	v_mfma_f32_16x16x16_f16 v[80:83], v[96:97], a[132:133], v[80:83]// 000000006970: D3CD0050 15430960
	v_exp_f32_e32 v58, v58                                     // 000000006978: 7E74413A
	v_mfma_f32_16x16x16_f16 v[80:83], v[98:99], a[134:135], v[80:83]// 00000000697C: D3CD0050 15430D62
	v_exp_f32_e32 v59, v59                                     // 000000006984: 7E76413B
	v_mfma_f32_16x16x16_f16 v[80:83], v[100:101], a[136:137], v[80:83]// 000000006988: D3CD0050 15431164
	v_cvt_pkrtz_f16_f32 v144, v48, v49                         // 000000006990: D2960090 00026330
	v_cvt_pkrtz_f16_f32 v145, v50, v51                         // 000000006998: D2960091 00026732
	v_cvt_pkrtz_f16_f32 v146, v52, v53                         // 0000000069A0: D2960092 00026B34
	v_mfma_f32_16x16x16_f16 v[80:83], v[102:103], a[138:139], v[80:83]// 0000000069A8: D3CD0050 15431566
	v_cvt_pkrtz_f16_f32 v147, v54, v55                         // 0000000069B0: D2960093 00026F36
	v_cvt_pkrtz_f16_f32 v148, v56, v57                         // 0000000069B8: D2960094 00027338
	v_cvt_pkrtz_f16_f32 v149, v58, v59                         // 0000000069C0: D2960095 0002773A
	v_mfma_f32_16x16x16_f16 v[80:83], v[104:105], a[140:141], v[80:83]// 0000000069C8: D3CD0050 15431968
	v_add_u32_e32 v7, s66, v7                                  // 0000000069D0: 680E0E42
	v_add_u32_e32 v8, s66, v8                                  // 0000000069D4: 68101042
	v_mfma_f32_16x16x16_f16 v[80:83], v[106:107], a[142:143], v[80:83]// 0000000069D8: D3CD0050 15431D6A
	s_waitcnt lgkmcnt(0)                                       // 0000000069E0: BF8CC07F
	s_barrier                                                  // 0000000069E4: BF8A0000
	v_mfma_f32_16x16x16_f16 v[152:155], v[108:109], v[144:145], v[152:155]// 0000000069E8: D3CD0098 0663216C
	v_subrev_f32_dpp v72, v150, v72 quad_perm:[0,0,0,0] row_mask:0xf bank_mask:0xf// 0000000069F0: 069090FA FF000096
	v_subrev_f32_dpp v73, v150, v73 quad_perm:[1,1,1,1] row_mask:0xf bank_mask:0xf// 0000000069F8: 069292FA FF005596
	v_subrev_f32_dpp v74, v150, v74 quad_perm:[2,2,2,2] row_mask:0xf bank_mask:0xf// 000000006A00: 069494FA FF00AA96
	v_mfma_f32_16x16x16_f16 v[156:159], v[110:111], v[144:145], v[156:159]// 000000006A08: D3CD009C 0673216E
	v_subrev_f32_dpp v75, v150, v75 quad_perm:[3,3,3,3] row_mask:0xf bank_mask:0xf// 000000006A10: 069696FA FF00FF96
	v_subrev_f32_dpp v76, v150, v76 quad_perm:[0,0,0,0] row_mask:0xf bank_mask:0xf// 000000006A18: 069898FA FF000096
	v_subrev_f32_dpp v77, v150, v77 quad_perm:[1,1,1,1] row_mask:0xf bank_mask:0xf// 000000006A20: 069A9AFA FF005596
	v_mfma_f32_16x16x16_f16 v[160:163], v[112:113], v[144:145], v[160:163]// 000000006A28: D3CD00A0 06832170
	v_mul_f32_e32 v72, v48, v72                                // 000000006A30: 0A909130
	v_mul_f32_e32 v73, v49, v73                                // 000000006A34: 0A929331
	v_mul_f32_e32 v74, v50, v74                                // 000000006A38: 0A949532
	v_mfma_f32_16x16x16_f16 v[164:167], v[114:115], v[144:145], v[164:167]// 000000006A3C: D3CD00A4 06932172
	v_mul_f32_e32 v75, v51, v75                                // 000000006A44: 0A969733
	v_mul_f32_e32 v76, v52, v76                                // 000000006A48: 0A989934
	v_mul_f32_e32 v77, v53, v77                                // 000000006A4C: 0A9A9B35
	v_mfma_f32_16x16x16_f16 v[168:171], v[116:117], v[144:145], v[168:171]// 000000006A50: D3CD00A8 06A32174
	v_cvt_pkrtz_f16_f32 v72, v72, v73                          // 000000006A58: D2960048 00029348
	v_cvt_pkrtz_f16_f32 v73, v74, v75                          // 000000006A60: D2960049 0002974A
	v_cvt_pkrtz_f16_f32 v74, v76, v77                          // 000000006A68: D296004A 00029B4C
	v_mfma_f32_16x16x16_f16 v[172:175], v[118:119], v[144:145], v[172:175]// 000000006A70: D3CD00AC 06B32176
	v_mov_b32_dpp v16, v72 quad_perm:[1,0,3,2] row_mask:0xf bank_mask:0xf// 000000006A78: 7E2002FA FF00B148
	v_perm_b32 v48, v16, v72, v15                              // 000000006A80: D1ED0030 043E9110
	v_mov_b32_dpp v16, v73 quad_perm:[1,0,3,2] row_mask:0xf bank_mask:0xf// 000000006A88: 7E2002FA FF00B149
	v_mfma_f32_16x16x16_f16 v[176:179], v[120:121], v[144:145], v[176:179]// 000000006A90: D3CD00B0 06C32178
	v_perm_b32 v49, v16, v73, v15                              // 000000006A98: D1ED0031 043E9310
	v_mov_b32_dpp v16, v74 quad_perm:[1,0,3,2] row_mask:0xf bank_mask:0xf// 000000006AA0: 7E2002FA FF00B14A
	v_perm_b32 v50, v16, v74, v15                              // 000000006AA8: D1ED0032 043E9510
	v_mfma_f32_16x16x16_f16 v[180:183], v[122:123], v[144:145], v[180:183]// 000000006AB0: D3CD00B4 06D3217A
	ds_write_b32 v18, v48 offset:17408                         // 000000006AB8: D81A4400 00003012
	v_mfma_f32_16x16x16_f16 v[184:187], v[108:109], v[146:147], v[184:187]// 000000006AC0: D3CD00B8 06E3256C
	v_subrev_f32_dpp v78, v150, v78 quad_perm:[2,2,2,2] row_mask:0xf bank_mask:0xf// 000000006AC8: 069C9CFA FF00AA96
	v_subrev_f32_dpp v79, v150, v79 quad_perm:[3,3,3,3] row_mask:0xf bank_mask:0xf// 000000006AD0: 069E9EFA FF00FF96
	v_subrev_f32_dpp v80, v150, v80 quad_perm:[0,0,0,0] row_mask:0xf bank_mask:0xf// 000000006AD8: 06A0A0FA FF000096
	v_mfma_f32_16x16x16_f16 v[188:191], v[110:111], v[146:147], v[188:191]// 000000006AE0: D3CD00BC 06F3256E
	ds_write_b32 v18, v49 offset:17952                         // 000000006AE8: D81A4620 00003112
	v_mfma_f32_16x16x16_f16 v[192:195], v[112:113], v[146:147], v[192:195]// 000000006AF0: D3CD00C0 07032570
	v_subrev_f32_dpp v81, v150, v81 quad_perm:[1,1,1,1] row_mask:0xf bank_mask:0xf// 000000006AF8: 06A2A2FA FF005596
	v_subrev_f32_dpp v82, v150, v82 quad_perm:[2,2,2,2] row_mask:0xf bank_mask:0xf// 000000006B00: 06A4A4FA FF00AA96
	v_subrev_f32_dpp v83, v150, v83 quad_perm:[3,3,3,3] row_mask:0xf bank_mask:0xf// 000000006B08: 06A6A6FA FF00FF96
	v_mfma_f32_16x16x16_f16 v[196:199], v[114:115], v[146:147], v[196:199]// 000000006B10: D3CD00C4 07132572
	ds_write_b32 v18, v50 offset:19712                         // 000000006B18: D81A4D00 00003212
	v_mfma_f32_16x16x16_f16 v[200:203], v[116:117], v[146:147], v[200:203]// 000000006B20: D3CD00C8 07232574
	v_mul_f32_e32 v78, v54, v78                                // 000000006B28: 0A9C9D36
	v_mul_f32_e32 v79, v55, v79                                // 000000006B2C: 0A9E9F37
	v_mul_f32_e32 v80, v56, v80                                // 000000006B30: 0AA0A138
	v_mfma_f32_16x16x16_f16 v[204:207], v[118:119], v[146:147], v[204:207]// 000000006B34: D3CD00CC 07332576
	v_mul_f32_e32 v81, v57, v81                                // 000000006B3C: 0AA2A339
	v_mul_f32_e32 v82, v58, v82                                // 000000006B40: 0AA4A53A
	v_mul_f32_e32 v83, v59, v83                                // 000000006B44: 0AA6A73B
	v_mfma_f32_16x16x16_f16 v[208:211], v[120:121], v[146:147], v[208:211]// 000000006B48: D3CD00D0 07432578
	v_cvt_pkrtz_f16_f32 v75, v78, v79                          // 000000006B50: D296004B 00029F4E
	v_cvt_pkrtz_f16_f32 v76, v80, v81                          // 000000006B58: D296004C 0002A350
	v_cvt_pkrtz_f16_f32 v77, v82, v83                          // 000000006B60: D296004D 0002A752
	v_mfma_f32_16x16x16_f16 v[212:215], v[122:123], v[146:147], v[212:215]// 000000006B68: D3CD00D4 0753257A
	v_mov_b32_dpp v16, v75 quad_perm:[1,0,3,2] row_mask:0xf bank_mask:0xf// 000000006B70: 7E2002FA FF00B14B
	v_perm_b32 v51, v16, v75, v15                              // 000000006B78: D1ED0033 043E9710
	v_mov_b32_dpp v16, v76 quad_perm:[1,0,3,2] row_mask:0xf bank_mask:0xf// 000000006B80: 7E2002FA FF00B14C
	v_mfma_f32_16x16x16_f16 v[216:219], v[108:109], v[148:149], v[216:219]// 000000006B88: D3CD00D8 0763296C
	v_perm_b32 v52, v16, v76, v15                              // 000000006B90: D1ED0034 043E9910
	v_mov_b32_dpp v16, v77 quad_perm:[1,0,3,2] row_mask:0xf bank_mask:0xf// 000000006B98: 7E2002FA FF00B14D
	v_perm_b32 v53, v16, v77, v15                              // 000000006BA0: D1ED0035 043E9B10
	v_mfma_f32_16x16x16_f16 v[220:223], v[110:111], v[148:149], v[220:223]// 000000006BA8: D3CD00DC 0773296E
	ds_write_b32 v18, v51 offset:20256                         // 000000006BB0: D81A4F20 00003312
	v_mfma_f32_16x16x16_f16 v[224:227], v[112:113], v[148:149], v[224:227]// 000000006BB8: D3CD00E0 07832970
	v_mfma_f32_16x16x16_f16 v[228:231], v[114:115], v[148:149], v[228:231]// 000000006BC0: D3CD00E4 07932972
	ds_write_b32 v18, v52 offset:22016                         // 000000006BC8: D81A5600 00003412
	ds_write_b32 v18, v53 offset:22560                         // 000000006BD0: D81A5820 00003512
	v_mfma_f32_16x16x16_f16 v[232:235], v[116:117], v[148:149], v[232:235]// 000000006BD8: D3CD00E8 07A32974
	v_mfma_f32_16x16x16_f16 v[236:239], v[118:119], v[148:149], v[236:239]// 000000006BE0: D3CD00EC 07B32976
	ds_write_b32 v13, v84 offset:4352                          // 000000006BE8: D81A1100 0000540D
	ds_write_b32 v13, v85 offset:5408                          // 000000006BF0: D81A1520 0000550D
	v_mfma_f32_16x16x16_f16 v[240:243], v[120:121], v[148:149], v[240:243]// 000000006BF8: D3CD00F0 07C32978
	s_nop 0                                                    // 000000006C00: BF800000
	s_nop 0                                                    // 000000006C04: BF800000
	s_nop 0                                                    // 000000006C08: BF800000
	v_mfma_f32_16x16x16_f16 v[244:247], v[122:123], v[148:149], v[244:247]// 000000006C0C: D3CD00F4 07D3297A
	ds_write_b32 v13, v86 offset:4480                          // 000000006C14: D81A1180 0000560D
	ds_write_b32 v13, v87 offset:5536                          // 000000006C1C: D81A15A0 0000570D
	s_barrier                                                  // 000000006C24: BF8A0000
	v_mfma_f32_16x16x16_f16 a[160:163], a[144:145], v[72:73], a[160:163]// 000000006C28: D3CD80A0 0E829190
	buffer_atomic_add_f32 v136, v7, s[32:35], 0 offen          // 000000006C30: E1341000 80088807
	v_mfma_f32_16x16x16_f16 a[164:167], a[146:147], v[72:73], a[164:167]// 000000006C38: D3CD80A4 0E929192
	ds_read_b32 v124, v21 offset:51200                         // 000000006C40: D86CC800 7C000015
	ds_read_b32 v150, v21 offset:51456                         // 000000006C48: D86CC900 96000015
	v_mfma_f32_16x16x16_f16 a[168:171], a[148:149], v[72:73], a[168:171]// 000000006C50: D3CD80A8 0EA29194
	s_waitcnt lgkmcnt(6)                                       // 000000006C58: BF8CC67F
	s_barrier                                                  // 000000006C5C: BF8A0000
	v_mfma_f32_16x16x16_f16 a[172:175], a[150:151], v[72:73], a[172:175]// 000000006C60: D3CD80AC 0EB29196
	ds_read_b128 v[48:51], v17 offset:17408                    // 000000006C68: D9FE4400 30000011
	v_mfma_f32_16x16x16_f16 a[176:179], a[152:153], v[72:73], a[176:179]// 000000006C70: D3CD80B0 0EC29198
	v_mfma_f32_16x16x16_f16 a[180:183], a[154:155], v[72:73], a[180:183]// 000000006C78: D3CD80B4 0ED2919A
	ds_read_b128 v[52:55], v17 offset:18560                    // 000000006C80: D9FE4880 34000011
	v_mfma_f32_16x16x16_f16 a[184:187], a[156:157], v[72:73], a[184:187]// 000000006C88: D3CD80B8 0EE2919C
	buffer_atomic_add_f32 v137, v8, s[32:35], 0 offen          // 000000006C90: E1341000 80088908
	v_mfma_f32_16x16x16_f16 a[188:191], a[158:159], v[72:73], a[188:191]// 000000006C98: D3CD80BC 0EF2919E
	ds_read_b128 v[56:59], v17 offset:19712                    // 000000006CA0: D9FE4D00 38000011
	v_mfma_f32_16x16x16_f16 a[192:195], a[144:145], v[74:75], a[192:195]// 000000006CA8: D3CD80C0 0F029590
	v_mfma_f32_16x16x16_f16 a[196:199], a[146:147], v[74:75], a[196:199]// 000000006CB0: D3CD80C4 0F129592
	ds_read_b128 v[60:63], v17 offset:20864                    // 000000006CB8: D9FE5180 3C000011
	v_mfma_f32_16x16x16_f16 a[200:203], a[148:149], v[74:75], a[200:203]// 000000006CC0: D3CD80C8 0F229594
	v_mfma_f32_16x16x16_f16 a[204:207], a[150:151], v[74:75], a[204:207]// 000000006CC8: D3CD80CC 0F329596
	ds_read_b128 v[64:67], v17 offset:22016                    // 000000006CD0: D9FE5600 40000011
	v_mfma_f32_16x16x16_f16 a[208:211], a[152:153], v[74:75], a[208:211]// 000000006CD8: D3CD80D0 0F429598
	buffer_atomic_add_f32 v138, v7, s[32:35], 0 offen offset:128// 000000006CE0: E1341080 80088A07
	v_mfma_f32_16x16x16_f16 a[212:215], a[154:155], v[74:75], a[212:215]// 000000006CE8: D3CD80D4 0F52959A
	ds_read_b128 v[68:71], v17 offset:23168                    // 000000006CF0: D9FE5A80 44000011
	v_mfma_f32_16x16x16_f16 a[216:219], a[156:157], v[74:75], a[216:219]// 000000006CF8: D3CD80D8 0F62959C
	v_mfma_f32_16x16x16_f16 a[220:223], a[158:159], v[74:75], a[220:223]// 000000006D00: D3CD80DC 0F72959E
	ds_write_b32 v13, v88 offset:13056                         // 000000006D08: D81A3300 0000580D
	v_mfma_f32_16x16x16_f16 a[224:227], a[144:145], v[76:77], a[224:227]// 000000006D10: D3CD80E0 0F829990
	v_mfma_f32_16x16x16_f16 a[228:231], a[146:147], v[76:77], a[228:231]// 000000006D18: D3CD80E4 0F929992
	ds_write_b32 v13, v89 offset:14112                         // 000000006D20: D81A3720 0000590D
	v_mfma_f32_16x16x16_f16 a[232:235], a[148:149], v[76:77], a[232:235]// 000000006D28: D3CD80E8 0FA29994
	buffer_atomic_add_f32 v139, v8, s[32:35], 0 offen offset:128// 000000006D30: E1341080 80088B08
	v_mfma_f32_16x16x16_f16 a[236:239], a[150:151], v[76:77], a[236:239]// 000000006D38: D3CD80EC 0FB29996
	ds_write_b32 v13, v90 offset:13184                         // 000000006D40: D81A3380 00005A0D
	v_mfma_f32_16x16x16_f16 a[240:243], a[152:153], v[76:77], a[240:243]// 000000006D48: D3CD80F0 0FC29998
	v_mfma_f32_16x16x16_f16 a[244:247], a[154:155], v[76:77], a[244:247]// 000000006D50: D3CD80F4 0FD2999A
	ds_write_b32 v13, v91 offset:14240                         // 000000006D58: D81A37A0 00005B0D
	v_mfma_f32_16x16x16_f16 a[248:251], a[156:157], v[76:77], a[248:251]// 000000006D60: D3CD80F8 0FE2999C
	v_mfma_f32_16x16x16_f16 a[252:255], a[158:159], v[76:77], a[252:255]// 000000006D68: D3CD80FC 0FF2999E
	s_waitcnt vmcnt(8) lgkmcnt(4)                              // 000000006D70: BF8C0478
	s_barrier                                                  // 000000006D74: BF8A0000
	v_mfma_f32_16x16x16_f16 v[128:131], v[48:49], a[48:49], 0  // 000000006D78: D3CD0080 12026130
	v_mul_f32_e32 v124, s48, v124                              // 000000006D80: 0AF8F830
	s_nop 0                                                    // 000000006D84: BF800000
	v_mfma_f32_16x16x16_f16 v[128:131], v[50:51], a[52:53], v[128:131]// 000000006D88: D3CD0080 16026932
	ds_read_b128 a[144:147], v10                               // 000000006D90: DBFE0000 9000000A
	v_mov_b32_e32 v36, 0                                       // 000000006D98: 7E480280
	s_mov_b64 exec, s[76:77]                                   // 000000006D9C: BEFE014C
	buffer_load_dword v36, v1, s[8:11], 0 idxen                // 000000006DA0: E0502000 80022401
	s_mov_b64 exec, s[84:85]                                   // 000000006DA8: BEFE0154
	v_mfma_f32_16x16x16_f16 v[128:131], v[52:53], a[56:57], v[128:131]// 000000006DAC: D3CD0080 16027134
	v_mfma_f32_16x16x16_f16 v[128:131], v[54:55], a[60:61], v[128:131]// 000000006DB4: D3CD0080 16027936
	ds_read_b128 a[148:151], v10 offset:512                    // 000000006DBC: DBFE0200 9400000A
	v_mov_b32_e32 v37, 0                                       // 000000006DC4: 7E4A0280
	s_mov_b64 exec, s[76:77]                                   // 000000006DC8: BEFE014C
	buffer_load_dword v37, v2, s[8:11], 0 idxen                // 000000006DCC: E0502000 80022502
	s_mov_b64 exec, s[84:85]                                   // 000000006DD4: BEFE0154
	v_mfma_f32_16x16x16_f16 v[128:131], v[56:57], a[64:65], v[128:131]// 000000006DD8: D3CD0080 16028138
	v_perm_b32 v84, v33, v32, s63                              // 000000006DE0: D1ED0054 00FE4121
	v_perm_b32 v85, v33, v32, s64                              // 000000006DE8: D1ED0055 01024121
	v_mfma_f32_16x16x16_f16 v[128:131], v[58:59], a[68:69], v[128:131]// 000000006DF0: D3CD0080 1602893A
	ds_read_b128 a[152:155], v10 offset:2176                   // 000000006DF8: DBFE0880 9800000A
	v_mov_b32_e32 v38, 0                                       // 000000006E00: 7E4C0280
	s_mov_b64 exec, s[76:77]                                   // 000000006E04: BEFE014C
	buffer_load_dword v38, v3, s[8:11], 0 idxen                // 000000006E08: E0502000 80022603
	s_mov_b64 exec, s[84:85]                                   // 000000006E10: BEFE0154
	v_mfma_f32_16x16x16_f16 v[128:131], v[60:61], a[72:73], v[128:131]// 000000006E14: D3CD0080 1602913C
	v_perm_b32 v86, v35, v34, s63                              // 000000006E1C: D1ED0056 00FE4523
	v_perm_b32 v87, v35, v34, s64                              // 000000006E24: D1ED0057 01024523
	v_mfma_f32_16x16x16_f16 v[128:131], v[62:63], a[76:77], v[128:131]// 000000006E2C: D3CD0080 1602993E
	ds_read_b128 a[156:159], v10 offset:2688                   // 000000006E34: DBFE0A80 9C00000A
	v_mov_b32_e32 v39, 0                                       // 000000006E3C: 7E4E0280
	s_mov_b64 exec, s[76:77]                                   // 000000006E40: BEFE014C
	buffer_load_dword v39, v4, s[8:11], 0 idxen                // 000000006E44: E0502000 80022704
	s_mov_b64 exec, s[84:85]                                   // 000000006E4C: BEFE0154
	v_mfma_f32_16x16x16_f16 v[128:131], v[64:65], a[80:81], v[128:131]// 000000006E50: D3CD0080 1602A140
	v_perm_b32 v88, v41, v40, s63                              // 000000006E58: D1ED0058 00FE5129
	v_perm_b32 v89, v41, v40, s64                              // 000000006E60: D1ED0059 01025129
	v_mfma_f32_16x16x16_f16 v[128:131], v[66:67], a[84:85], v[128:131]// 000000006E68: D3CD0080 1602A942
	ds_read_b128 v[92:95], v10 offset:8704                     // 000000006E70: D9FE2200 5C00000A
	v_mov_b32_e32 v44, 0                                       // 000000006E78: 7E580280
	s_mov_b64 exec, s[76:77]                                   // 000000006E7C: BEFE014C
	buffer_load_dword v44, v248, s[20:23], 0 idxen             // 000000006E80: E0502000 80052CF8
	s_mov_b64 exec, s[84:85]                                   // 000000006E88: BEFE0154
	v_mfma_f32_16x16x16_f16 v[128:131], v[68:69], a[88:89], v[128:131]// 000000006E8C: D3CD0080 1602B144
	v_perm_b32 v90, v43, v42, s63                              // 000000006E94: D1ED005A 00FE552B
	v_perm_b32 v91, v43, v42, s64                              // 000000006E9C: D1ED005B 0102552B
	v_mfma_f32_16x16x16_f16 v[128:131], v[70:71], a[92:93], v[128:131]// 000000006EA4: D3CD0080 1602B946
	ds_read_b128 v[96:99], v10 offset:9216                     // 000000006EAC: D9FE2400 6000000A
	v_mov_b32_e32 v45, 0                                       // 000000006EB4: 7E5A0280
	s_mov_b64 exec, s[76:77]                                   // 000000006EB8: BEFE014C
	buffer_load_dword v45, v249, s[20:23], 0 idxen             // 000000006EBC: E0502000 80052DF9
	s_mov_b64 exec, s[84:85]                                   // 000000006EC4: BEFE0154
	v_mfma_f32_16x16x16_f16 v[132:135], v[48:49], a[50:51], 0  // 000000006EC8: D3CD0084 12026530
	v_mov_b32_dpp v127, v124 quad_perm:[3,3,3,3] row_mask:0xf bank_mask:0xf// 000000006ED0: 7EFE02FA FF00FF7C
	v_mov_b32_dpp v126, v124 quad_perm:[2,2,2,2] row_mask:0xf bank_mask:0xf// 000000006ED8: 7EFC02FA FF00AA7C
	v_mfma_f32_16x16x16_f16 v[132:135], v[50:51], a[54:55], v[132:135]// 000000006EE0: D3CD0084 16126D32
	ds_read_b128 v[100:103], v10 offset:10880                  // 000000006EE8: D9FE2A80 6400000A
	v_mov_b32_e32 v46, 0                                       // 000000006EF0: 7E5C0280
	s_mov_b64 exec, s[76:77]                                   // 000000006EF4: BEFE014C
	buffer_load_dword v46, v250, s[20:23], 0 idxen             // 000000006EF8: E0502000 80052EFA
	s_mov_b64 exec, s[84:85]                                   // 000000006F00: BEFE0154
	v_mfma_f32_16x16x16_f16 v[132:135], v[52:53], a[58:59], v[132:135]// 000000006F04: D3CD0084 16127534
	v_mov_b32_dpp v125, v124 quad_perm:[1,1,1,1] row_mask:0xf bank_mask:0xf// 000000006F0C: 7EFA02FA FF00557C
	v_mov_b32_dpp v124, v124 quad_perm:[0,0,0,0] row_mask:0xf bank_mask:0xf// 000000006F14: 7EF802FA FF00007C
	s_add_u32 s60, 64, s59                                     // 000000006F1C: 803C3BC0
	v_mfma_f32_16x16x16_f16 v[132:135], v[54:55], a[62:63], v[132:135]// 000000006F20: D3CD0084 16127D36
	ds_read_b128 v[104:107], v10 offset:11392                  // 000000006F28: D9FE2C80 6800000A
	v_mov_b32_e32 v47, 0                                       // 000000006F30: 7E5E0280
	s_mov_b64 exec, s[76:77]                                   // 000000006F34: BEFE014C
	buffer_load_dword v47, v251, s[20:23], 0 idxen             // 000000006F38: E0502000 80052FFB
	s_mov_b64 exec, s[84:85]                                   // 000000006F40: BEFE0154
	v_mfma_f32_16x16x16_f16 v[132:135], v[56:57], a[66:67], v[132:135]// 000000006F44: D3CD0084 16128538
	s_cmp_lt_u32 s60, s58                                      // 000000006F4C: BF0A3A3C
	s_cselect_b32 s68, s68, 0                                  // 000000006F50: 85448044
	s_cselect_b32 s101, s101, 0                                // 000000006F54: 85658065
	s_cselect_b32 s69, s69, 0                                  // 000000006F58: 85458045
	v_mfma_f32_16x16x16_f16 v[132:135], v[58:59], a[70:71], v[132:135]// 000000006F5C: D3CD0084 16128D3A
	buffer_load_dword v9, s[24:27], 0 idxen lds                // 000000006F64: E0512000 80060009
	v_mfma_f32_16x16x16_f16 v[132:135], v[60:61], a[74:75], v[132:135]// 000000006F6C: D3CD0084 1612953C
	v_add_u32_e32 v1, s68, v1                                  // 000000006F74: 68020244
	v_add_u32_e32 v2, s68, v2                                  // 000000006F78: 68040444
	v_add_u32_e32 v3, s68, v3                                  // 000000006F7C: 68060644
	v_add_u32_e32 v4, s68, v4                                  // 000000006F80: 68080844
	v_mfma_f32_16x16x16_f16 v[132:135], v[62:63], a[78:79], v[132:135]// 000000006F84: D3CD0084 16129D3E
	v_add_u32_e32 v248, s101, v248                             // 000000006F8C: 69F1F065
	v_add_u32_e32 v249, s101, v249                             // 000000006F90: 69F3F265
	v_add_u32_e32 v250, s101, v250                             // 000000006F94: 69F5F465
	v_add_u32_e32 v251, s101, v251                             // 000000006F98: 69F7F665
	v_mfma_f32_16x16x16_f16 v[132:135], v[64:65], a[82:83], v[132:135]// 000000006F9C: D3CD0084 1612A540
	s_mov_b32 m0, s74                                          // 000000006FA4: BEFC004A
	v_add_u32_e32 v9, s69, v9                                  // 000000006FA8: 68121245
	v_mfma_f32_16x16x16_f16 v[132:135], v[66:67], a[86:87], v[132:135]// 000000006FAC: D3CD0084 1612AD42
	s_cmp_ge_u32 s59, 16                                       // 000000006FB4: BF09903B
	s_cselect_b32 s66, s67, s66                                // 000000006FB8: 85424243
	v_mfma_f32_16x16x16_f16 v[132:135], v[68:69], a[90:91], v[132:135]// 000000006FBC: D3CD0084 1612B544
	s_addk_i32 s59, 0x10                                       // 000000006FC4: B73B0010
	s_nop 0                                                    // 000000006FC8: BF800000
	s_cmp_lt_i32 s59, s58                                      // 000000006FCC: BF043A3B
	v_mfma_f32_16x16x16_f16 v[132:135], v[70:71], a[94:95], v[132:135]// 000000006FD0: D3CD0084 1612BD46
	s_cbranch_scc0 label_0F27                                  // 000000006FD8: BF8402A6
	s_waitcnt lgkmcnt(0)                                       // 000000006FDC: BF8CC07F
	s_barrier                                                  // 000000006FE0: BF8A0000
	v_mfma_f32_16x16x16_f16 v[48:51], a[144:145], a[0:1], 0    // 000000006FE4: D3CD0030 1A020190
	ds_write_b32 v11, v40 offset:8704                          // 000000006FEC: D81A2200 0000280B
	ds_write_b32 v11, v41 offset:9760                          // 000000006FF4: D81A2620 0000290B
	v_mfma_f32_16x16x16_f16 v[48:51], a[146:147], a[2:3], v[48:51]// 000000006FFC: D3CD0030 1CC20592
	v_mul_f32_e32 v128, s47, v128                              // 000000007004: 0B01002F
	v_mul_f32_e32 v129, s47, v129                              // 000000007008: 0B03022F
	v_mfma_f32_16x16x16_f16 v[48:51], a[148:149], a[4:5], v[48:51]// 00000000700C: D3CD0030 1CC20994
	ds_write_b32 v11, v42 offset:8832                          // 000000007014: D81A2280 00002A0B
	ds_write_b32 v11, v43 offset:9888                          // 00000000701C: D81A26A0 00002B0B
	v_mfma_f32_16x16x16_f16 v[48:51], a[150:151], a[6:7], v[48:51]// 000000007024: D3CD0030 1CC20D96
	v_mul_f32_e32 v130, s47, v130                              // 00000000702C: 0B05042F
	v_mul_f32_e32 v131, s47, v131                              // 000000007030: 0B07062F
	v_mfma_f32_16x16x16_f16 v[48:51], a[152:153], a[8:9], v[48:51]// 000000007034: D3CD0030 1CC21198
	ds_write_b64 v20, v[128:129] offset:24320                  // 00000000703C: D89A5F00 00008014
	v_mfma_f32_16x16x16_f16 v[48:51], a[154:155], a[10:11], v[48:51]// 000000007044: D3CD0030 1CC2159A
	v_mul_f32_e32 v132, s47, v132                              // 00000000704C: 0B09082F
	v_mul_f32_e32 v133, s47, v133                              // 000000007050: 0B0B0A2F
	v_mfma_f32_16x16x16_f16 v[48:51], a[156:157], a[12:13], v[48:51]// 000000007054: D3CD0030 1CC2199C
	ds_write_b64 v20, v[130:131] offset:24832                  // 00000000705C: D89A6100 00008214
	v_mfma_f32_16x16x16_f16 v[48:51], a[158:159], a[14:15], v[48:51]// 000000007064: D3CD0030 1CC21D9E
	v_mul_f32_e32 v134, s47, v134                              // 00000000706C: 0B0D0C2F
	v_mul_f32_e32 v135, s47, v135                              // 000000007070: 0B0F0E2F
	v_mfma_f32_16x16x16_f16 v[52:55], a[144:145], a[16:17], 0  // 000000007074: D3CD0034 1A022190
	ds_write_b64 v20, v[132:133] offset:25344                  // 00000000707C: D89A6300 00008414
	v_mfma_f32_16x16x16_f16 v[52:55], a[146:147], a[18:19], v[52:55]// 000000007084: D3CD0034 1CD22592
	buffer_atomic_add_f32 v140, v7, s[32:35], 0 offen offset:256// 00000000708C: E1341100 80088C07
	v_mfma_f32_16x16x16_f16 v[52:55], a[148:149], a[20:21], v[52:55]// 000000007094: D3CD0034 1CD22994
	ds_write_b64 v20, v[134:135] offset:25856                  // 00000000709C: D89A6500 00008614
	v_mfma_f32_16x16x16_f16 v[52:55], a[150:151], a[22:23], v[52:55]// 0000000070A4: D3CD0034 1CD22D96
	v_mfma_f32_16x16x16_f16 v[52:55], a[152:153], a[24:25], v[52:55]// 0000000070AC: D3CD0034 1CD23198
	ds_read_b128 v[108:111], v12 offset:13056                  // 0000000070B4: D9FE3300 6C00000C
	ds_write_b32 v11, v32                                      // 0000000070BC: D81A0000 0000200B
	v_mfma_f32_16x16x16_f16 v[52:55], a[154:155], a[26:27], v[52:55]// 0000000070C4: D3CD0034 1CD2359A
	buffer_atomic_add_f32 v141, v8, s[32:35], 0 offen offset:256// 0000000070CC: E1341100 80088D08
	v_mfma_f32_16x16x16_f16 v[52:55], a[156:157], a[28:29], v[52:55]// 0000000070D4: D3CD0034 1CD2399C
	v_mfma_f32_16x16x16_f16 v[52:55], a[158:159], a[30:31], v[52:55]// 0000000070DC: D3CD0034 1CD23D9E
	ds_read_b128 v[112:115], v12 offset:13568                  // 0000000070E4: D9FE3500 7000000C
	ds_write_b32 v11, v33 offset:1056                          // 0000000070EC: D81A0420 0000210B
	v_mfma_f32_16x16x16_f16 v[56:59], a[144:145], a[32:33], 0  // 0000000070F4: D3CD0038 1A024190
	buffer_atomic_add_f32 v142, v7, s[32:35], 0 offen offset:384// 0000000070FC: E1341180 80088E07
	v_mfma_f32_16x16x16_f16 v[56:59], a[146:147], a[34:35], v[56:59]// 000000007104: D3CD0038 1CE24592
	v_mfma_f32_16x16x16_f16 v[56:59], a[148:149], a[36:37], v[56:59]// 00000000710C: D3CD0038 1CE24994
	ds_read_b128 v[116:119], v12 offset:15232                  // 000000007114: D9FE3B80 7400000C
	ds_write_b32 v11, v34 offset:128                           // 00000000711C: D81A0080 0000220B
	v_mfma_f32_16x16x16_f16 v[56:59], a[150:151], a[38:39], v[56:59]// 000000007124: D3CD0038 1CE24D96
	v_mfma_f32_16x16x16_f16 v[56:59], a[152:153], a[40:41], v[56:59]// 00000000712C: D3CD0038 1CE25198
	buffer_atomic_add_f32 v143, v8, s[32:35], 0 offen offset:384// 000000007134: E1341180 80088F08
	v_mfma_f32_16x16x16_f16 v[56:59], a[154:155], a[42:43], v[56:59]// 00000000713C: D3CD0038 1CE2559A
	ds_read_b128 v[120:123], v12 offset:15744                  // 000000007144: D9FE3D80 7800000C
	ds_write_b32 v11, v35 offset:1184                          // 00000000714C: D81A04A0 0000230B
	v_mfma_f32_16x16x16_f16 v[56:59], a[156:157], a[44:45], v[56:59]// 000000007154: D3CD0038 1CE2599C
	v_mfma_f32_16x16x16_f16 v[56:59], a[158:159], a[46:47], v[56:59]// 00000000715C: D3CD0038 1CE25D9E
	s_cmp_lt_i32 s81, 0xc0                                     // 000000007164: BF04FF51 000000C0
	s_cbranch_scc0 label_0D33                                  // 00000000716C: BF84004D
	s_cmp_le_i32 s81, 64                                       // 000000007170: BF05C051
	s_cbranch_scc1 label_0CEA                                  // 000000007174: BF850007
	s_cmp_le_i32 s81, 0x80                                     // 000000007178: BF05FF51 00000080
	s_cbranch_scc1 label_0D02                                  // 000000007180: BF850017
	s_cmp_lt_i32 s81, 0xc0                                     // 000000007184: BF04FF51 000000C0
	s_cbranch_scc1 label_0D1A                                  // 00000000718C: BF85002C
	s_branch label_0D33                                        // 000000007190: BF820044

0000000000007194 <label_0CEA>:
	s_mov_b32 s60, 0                                           // 000000007194: BEBC0080
	v_and_b32_e32 v28, 15, v0                                  // 000000007198: 2638008F
	v_add_u32_e64 v28, v28, s60                                // 00000000719C: D134001C 0000791C
	v_mul_i32_i24_e64 v29, s46, 16                             // 0000000071A4: D106001D 0001202E
	v_add_u32_e32 v28, v28, v29                                // 0000000071AC: 68383B1C
	v_cmp_lt_u32_e64 s[60:61], v28, s81                        // 0000000071B0: D0C9003C 0000A31C
	s_nop 1                                                    // 0000000071B8: BF800001
	v_cndmask_b32_e64 v48, v151, v48, s[60:61]                 // 0000000071BC: D1000030 00F26197
	v_cndmask_b32_e64 v49, v151, v49, s[60:61]                 // 0000000071C4: D1000031 00F26397
	v_cndmask_b32_e64 v50, v151, v50, s[60:61]                 // 0000000071CC: D1000032 00F26597
	v_cndmask_b32_e64 v51, v151, v51, s[60:61]                 // 0000000071D4: D1000033 00F26797
	s_branch label_0D15                                        // 0000000071DC: BF820013

00000000000071e0 <label_0D02>:
	s_mov_b32 s60, 64                                          // 0000000071E0: BEBC00C0
	v_and_b32_e32 v28, 15, v0                                  // 0000000071E4: 2638008F
	v_add_u32_e64 v28, v28, s60                                // 0000000071E8: D134001C 0000791C
	v_mul_i32_i24_e64 v29, s46, 16                             // 0000000071F0: D106001D 0001202E
	v_add_u32_e32 v28, v28, v29                                // 0000000071F8: 68383B1C
	v_cmp_lt_u32_e64 s[60:61], v28, s81                        // 0000000071FC: D0C9003C 0000A31C
	s_nop 1                                                    // 000000007204: BF800001
	v_cndmask_b32_e64 v52, v151, v52, s[60:61]                 // 000000007208: D1000034 00F26997
	v_cndmask_b32_e64 v53, v151, v53, s[60:61]                 // 000000007210: D1000035 00F26B97
	v_cndmask_b32_e64 v54, v151, v54, s[60:61]                 // 000000007218: D1000036 00F26D97
	v_cndmask_b32_e64 v55, v151, v55, s[60:61]                 // 000000007220: D1000037 00F26F97
	s_branch label_0D2E                                        // 000000007228: BF820019

000000000000722c <label_0D15>:
	v_mov_b32_e32 v52, v151                                    // 00000000722C: 7E680397
	v_mov_b32_e32 v53, v151                                    // 000000007230: 7E6A0397
	v_mov_b32_e32 v54, v151                                    // 000000007234: 7E6C0397
	v_mov_b32_e32 v55, v151                                    // 000000007238: 7E6E0397
	s_branch label_0D2E                                        // 00000000723C: BF820014

0000000000007240 <label_0D1A>:
	s_mov_b32 s60, 0x80                                        // 000000007240: BEBC00FF 00000080
	v_and_b32_e32 v28, 15, v0                                  // 000000007248: 2638008F
	v_add_u32_e64 v28, v28, s60                                // 00000000724C: D134001C 0000791C
	v_mul_i32_i24_e64 v29, s46, 16                             // 000000007254: D106001D 0001202E
	v_add_u32_e32 v28, v28, v29                                // 00000000725C: 68383B1C
	v_cmp_lt_u32_e64 s[60:61], v28, s81                        // 000000007260: D0C9003C 0000A31C
	s_nop 1                                                    // 000000007268: BF800001
	v_cndmask_b32_e64 v56, v151, v56, s[60:61]                 // 00000000726C: D1000038 00F27197
	v_cndmask_b32_e64 v57, v151, v57, s[60:61]                 // 000000007274: D1000039 00F27397
	v_cndmask_b32_e64 v58, v151, v58, s[60:61]                 // 00000000727C: D100003A 00F27597
	v_cndmask_b32_e64 v59, v151, v59, s[60:61]                 // 000000007284: D100003B 00F27797
	s_branch label_0D33                                        // 00000000728C: BF820005

0000000000007290 <label_0D2E>:
	v_mov_b32_e32 v56, v151                                    // 000000007290: 7E700397
	v_mov_b32_e32 v57, v151                                    // 000000007294: 7E720397
	v_mov_b32_e32 v58, v151                                    // 000000007298: 7E740397
	v_mov_b32_e32 v59, v151                                    // 00000000729C: 7E760397
	s_branch label_0D33                                        // 0000000072A0: BF820000

00000000000072a4 <label_0D33>:
	s_waitcnt lgkmcnt(8)                                       // 0000000072A4: BF8CC87F
	s_barrier                                                  // 0000000072A8: BF8A0000
	v_mfma_f32_16x16x16_f16 v[72:75], v[92:93], a[96:97], 0    // 0000000072AC: D3CD0048 1202C15C
	ds_read_b128 a[144:147], v12 offset:4352                   // 0000000072B4: DBFE1100 9000000C
	ds_read_b128 a[148:151], v12 offset:4864                   // 0000000072BC: DBFE1300 9400000C
	v_mfma_f32_16x16x16_f16 v[72:75], v[94:95], a[98:99], v[72:75]// 0000000072C4: D3CD0048 1522C55E
	v_fma_f32 v48, v48, s57, -v124                             // 0000000072CC: D1CB0030 85F07330
	v_fma_f32 v49, v49, s57, -v125                             // 0000000072D4: D1CB0031 85F47331
	v_fma_f32 v50, v50, s57, -v126                             // 0000000072DC: D1CB0032 85F87332
	v_mfma_f32_16x16x16_f16 v[72:75], v[96:97], a[100:101], v[72:75]// 0000000072E4: D3CD0048 1522C960
	v_fma_f32 v51, v51, s57, -v127                             // 0000000072EC: D1CB0033 85FC7333
	v_fma_f32 v52, v52, s57, -v124                             // 0000000072F4: D1CB0034 85F07334
	v_fma_f32 v53, v53, s57, -v125                             // 0000000072FC: D1CB0035 85F47335
	v_mfma_f32_16x16x16_f16 v[72:75], v[98:99], a[102:103], v[72:75]// 000000007304: D3CD0048 1522CD62
	v_fma_f32 v54, v54, s57, -v126                             // 00000000730C: D1CB0036 85F87336
	v_fma_f32 v55, v55, s57, -v127                             // 000000007314: D1CB0037 85FC7337
	v_fma_f32 v56, v56, s57, -v124                             // 00000000731C: D1CB0038 85F07338
	v_mfma_f32_16x16x16_f16 v[72:75], v[100:101], a[104:105], v[72:75]// 000000007324: D3CD0048 1522D164
	ds_read_b128 a[152:155], v12 offset:6528                   // 00000000732C: DBFE1980 9800000C
	ds_read_b128 a[156:159], v12 offset:7040                   // 000000007334: DBFE1B80 9C00000C
	v_mfma_f32_16x16x16_f16 v[72:75], v[102:103], a[106:107], v[72:75]// 00000000733C: D3CD0048 1522D566
	v_fma_f32 v57, v57, s57, -v125                             // 000000007344: D1CB0039 85F47339
	v_fma_f32 v58, v58, s57, -v126                             // 00000000734C: D1CB003A 85F8733A
	v_fma_f32 v59, v59, s57, -v127                             // 000000007354: D1CB003B 85FC733B
	v_mfma_f32_16x16x16_f16 v[72:75], v[104:105], a[108:109], v[72:75]// 00000000735C: D3CD0048 1522D968
	v_exp_f32_e32 v48, v48                                     // 000000007364: 7E604130
	v_mfma_f32_16x16x16_f16 v[72:75], v[106:107], a[110:111], v[72:75]// 000000007368: D3CD0048 1522DD6A
	v_exp_f32_e32 v49, v49                                     // 000000007370: 7E624131
	v_mfma_f32_16x16x16_f16 v[76:79], v[92:93], a[112:113], 0  // 000000007374: D3CD004C 1202E15C
	ds_read_b64 v[136:137], v19 offset:24320                   // 00000000737C: D8EC5F00 88000013
	ds_read_b64 v[138:139], v19 offset:26368                   // 000000007384: D8EC6700 8A000013
	v_mfma_f32_16x16x16_f16 v[76:79], v[94:95], a[114:115], v[76:79]// 00000000738C: D3CD004C 1532E55E
	v_exp_f32_e32 v50, v50                                     // 000000007394: 7E644132
	v_mfma_f32_16x16x16_f16 v[76:79], v[96:97], a[116:117], v[76:79]// 000000007398: D3CD004C 1532E960
	ds_read_b64 v[140:141], v19 offset:28416                   // 0000000073A0: D8EC6F00 8C000013
	ds_read_b64 v[142:143], v19 offset:30464                   // 0000000073A8: D8EC7700 8E000013
	v_mfma_f32_16x16x16_f16 v[76:79], v[98:99], a[118:119], v[76:79]// 0000000073B0: D3CD004C 1532ED62
	v_exp_f32_e32 v51, v51                                     // 0000000073B8: 7E664133
	v_mfma_f32_16x16x16_f16 v[76:79], v[100:101], a[120:121], v[76:79]// 0000000073BC: D3CD004C 1532F164
	v_exp_f32_e32 v52, v52                                     // 0000000073C4: 7E684134
	v_mfma_f32_16x16x16_f16 v[76:79], v[102:103], a[122:123], v[76:79]// 0000000073C8: D3CD004C 1532F566
	v_exp_f32_e32 v53, v53                                     // 0000000073D0: 7E6A4135
	v_mfma_f32_16x16x16_f16 v[76:79], v[104:105], a[124:125], v[76:79]// 0000000073D4: D3CD004C 1532F968
	v_exp_f32_e32 v54, v54                                     // 0000000073DC: 7E6C4136
	v_mfma_f32_16x16x16_f16 v[76:79], v[106:107], a[126:127], v[76:79]// 0000000073E0: D3CD004C 1532FD6A
	v_exp_f32_e32 v55, v55                                     // 0000000073E8: 7E6E4137
	v_mfma_f32_16x16x16_f16 v[80:83], v[92:93], a[128:129], 0  // 0000000073EC: D3CD0050 1203015C
	v_exp_f32_e32 v56, v56                                     // 0000000073F4: 7E704138
	v_mfma_f32_16x16x16_f16 v[80:83], v[94:95], a[130:131], v[80:83]// 0000000073F8: D3CD0050 1543055E
	v_exp_f32_e32 v57, v57                                     // 000000007400: 7E724139
	v_mfma_f32_16x16x16_f16 v[80:83], v[96:97], a[132:133], v[80:83]// 000000007404: D3CD0050 15430960
	v_exp_f32_e32 v58, v58                                     // 00000000740C: 7E74413A
	v_mfma_f32_16x16x16_f16 v[80:83], v[98:99], a[134:135], v[80:83]// 000000007410: D3CD0050 15430D62
	v_exp_f32_e32 v59, v59                                     // 000000007418: 7E76413B
	v_mfma_f32_16x16x16_f16 v[80:83], v[100:101], a[136:137], v[80:83]// 00000000741C: D3CD0050 15431164
	v_cvt_pkrtz_f16_f32 v144, v48, v49                         // 000000007424: D2960090 00026330
	v_cvt_pkrtz_f16_f32 v145, v50, v51                         // 00000000742C: D2960091 00026732
	v_cvt_pkrtz_f16_f32 v146, v52, v53                         // 000000007434: D2960092 00026B34
	v_mfma_f32_16x16x16_f16 v[80:83], v[102:103], a[138:139], v[80:83]// 00000000743C: D3CD0050 15431566
	v_cvt_pkrtz_f16_f32 v147, v54, v55                         // 000000007444: D2960093 00026F36
	v_cvt_pkrtz_f16_f32 v148, v56, v57                         // 00000000744C: D2960094 00027338
	v_cvt_pkrtz_f16_f32 v149, v58, v59                         // 000000007454: D2960095 0002773A
	v_mfma_f32_16x16x16_f16 v[80:83], v[104:105], a[140:141], v[80:83]// 00000000745C: D3CD0050 15431968
	v_add_u32_e32 v7, s66, v7                                  // 000000007464: 680E0E42
	v_add_u32_e32 v8, s66, v8                                  // 000000007468: 68101042
	v_mfma_f32_16x16x16_f16 v[80:83], v[106:107], a[142:143], v[80:83]// 00000000746C: D3CD0050 15431D6A
	s_waitcnt lgkmcnt(0)                                       // 000000007474: BF8CC07F
	s_barrier                                                  // 000000007478: BF8A0000
	v_mfma_f32_16x16x16_f16 v[152:155], v[108:109], v[144:145], v[152:155]// 00000000747C: D3CD0098 0663216C
	v_subrev_f32_dpp v72, v150, v72 quad_perm:[0,0,0,0] row_mask:0xf bank_mask:0xf// 000000007484: 069090FA FF000096
	v_subrev_f32_dpp v73, v150, v73 quad_perm:[1,1,1,1] row_mask:0xf bank_mask:0xf// 00000000748C: 069292FA FF005596
	v_subrev_f32_dpp v74, v150, v74 quad_perm:[2,2,2,2] row_mask:0xf bank_mask:0xf// 000000007494: 069494FA FF00AA96
	v_mfma_f32_16x16x16_f16 v[156:159], v[110:111], v[144:145], v[156:159]// 00000000749C: D3CD009C 0673216E
	v_subrev_f32_dpp v75, v150, v75 quad_perm:[3,3,3,3] row_mask:0xf bank_mask:0xf// 0000000074A4: 069696FA FF00FF96
	v_subrev_f32_dpp v76, v150, v76 quad_perm:[0,0,0,0] row_mask:0xf bank_mask:0xf// 0000000074AC: 069898FA FF000096
	v_subrev_f32_dpp v77, v150, v77 quad_perm:[1,1,1,1] row_mask:0xf bank_mask:0xf// 0000000074B4: 069A9AFA FF005596
	v_mfma_f32_16x16x16_f16 v[160:163], v[112:113], v[144:145], v[160:163]// 0000000074BC: D3CD00A0 06832170
	v_mul_f32_e32 v72, v48, v72                                // 0000000074C4: 0A909130
	v_mul_f32_e32 v73, v49, v73                                // 0000000074C8: 0A929331
	v_mul_f32_e32 v74, v50, v74                                // 0000000074CC: 0A949532
	v_mfma_f32_16x16x16_f16 v[164:167], v[114:115], v[144:145], v[164:167]// 0000000074D0: D3CD00A4 06932172
	v_mul_f32_e32 v75, v51, v75                                // 0000000074D8: 0A969733
	v_mul_f32_e32 v76, v52, v76                                // 0000000074DC: 0A989934
	v_mul_f32_e32 v77, v53, v77                                // 0000000074E0: 0A9A9B35
	v_mfma_f32_16x16x16_f16 v[168:171], v[116:117], v[144:145], v[168:171]// 0000000074E4: D3CD00A8 06A32174
	v_cvt_pkrtz_f16_f32 v72, v72, v73                          // 0000000074EC: D2960048 00029348
	v_cvt_pkrtz_f16_f32 v73, v74, v75                          // 0000000074F4: D2960049 0002974A
	v_cvt_pkrtz_f16_f32 v74, v76, v77                          // 0000000074FC: D296004A 00029B4C
	v_mfma_f32_16x16x16_f16 v[172:175], v[118:119], v[144:145], v[172:175]// 000000007504: D3CD00AC 06B32176
	v_mov_b32_dpp v16, v72 quad_perm:[1,0,3,2] row_mask:0xf bank_mask:0xf// 00000000750C: 7E2002FA FF00B148
	v_perm_b32 v48, v16, v72, v15                              // 000000007514: D1ED0030 043E9110
	v_mov_b32_dpp v16, v73 quad_perm:[1,0,3,2] row_mask:0xf bank_mask:0xf// 00000000751C: 7E2002FA FF00B149
	v_mfma_f32_16x16x16_f16 v[176:179], v[120:121], v[144:145], v[176:179]// 000000007524: D3CD00B0 06C32178
	v_perm_b32 v49, v16, v73, v15                              // 00000000752C: D1ED0031 043E9310
	v_mov_b32_dpp v16, v74 quad_perm:[1,0,3,2] row_mask:0xf bank_mask:0xf// 000000007534: 7E2002FA FF00B14A
	v_perm_b32 v50, v16, v74, v15                              // 00000000753C: D1ED0032 043E9510
	v_mfma_f32_16x16x16_f16 v[180:183], v[122:123], v[144:145], v[180:183]// 000000007544: D3CD00B4 06D3217A
	ds_write_b32 v18, v48 offset:17408                         // 00000000754C: D81A4400 00003012
	v_mfma_f32_16x16x16_f16 v[184:187], v[108:109], v[146:147], v[184:187]// 000000007554: D3CD00B8 06E3256C
	v_subrev_f32_dpp v78, v150, v78 quad_perm:[2,2,2,2] row_mask:0xf bank_mask:0xf// 00000000755C: 069C9CFA FF00AA96
	v_subrev_f32_dpp v79, v150, v79 quad_perm:[3,3,3,3] row_mask:0xf bank_mask:0xf// 000000007564: 069E9EFA FF00FF96
	v_subrev_f32_dpp v80, v150, v80 quad_perm:[0,0,0,0] row_mask:0xf bank_mask:0xf// 00000000756C: 06A0A0FA FF000096
	v_mfma_f32_16x16x16_f16 v[188:191], v[110:111], v[146:147], v[188:191]// 000000007574: D3CD00BC 06F3256E
	ds_write_b32 v18, v49 offset:17952                         // 00000000757C: D81A4620 00003112
	v_mfma_f32_16x16x16_f16 v[192:195], v[112:113], v[146:147], v[192:195]// 000000007584: D3CD00C0 07032570
	v_subrev_f32_dpp v81, v150, v81 quad_perm:[1,1,1,1] row_mask:0xf bank_mask:0xf// 00000000758C: 06A2A2FA FF005596
	v_subrev_f32_dpp v82, v150, v82 quad_perm:[2,2,2,2] row_mask:0xf bank_mask:0xf// 000000007594: 06A4A4FA FF00AA96
	v_subrev_f32_dpp v83, v150, v83 quad_perm:[3,3,3,3] row_mask:0xf bank_mask:0xf// 00000000759C: 06A6A6FA FF00FF96
	v_mfma_f32_16x16x16_f16 v[196:199], v[114:115], v[146:147], v[196:199]// 0000000075A4: D3CD00C4 07132572
	ds_write_b32 v18, v50 offset:19712                         // 0000000075AC: D81A4D00 00003212
	v_mfma_f32_16x16x16_f16 v[200:203], v[116:117], v[146:147], v[200:203]// 0000000075B4: D3CD00C8 07232574
	v_mul_f32_e32 v78, v54, v78                                // 0000000075BC: 0A9C9D36
	v_mul_f32_e32 v79, v55, v79                                // 0000000075C0: 0A9E9F37
	v_mul_f32_e32 v80, v56, v80                                // 0000000075C4: 0AA0A138
	v_mfma_f32_16x16x16_f16 v[204:207], v[118:119], v[146:147], v[204:207]// 0000000075C8: D3CD00CC 07332576
	v_mul_f32_e32 v81, v57, v81                                // 0000000075D0: 0AA2A339
	v_mul_f32_e32 v82, v58, v82                                // 0000000075D4: 0AA4A53A
	v_mul_f32_e32 v83, v59, v83                                // 0000000075D8: 0AA6A73B
	v_mfma_f32_16x16x16_f16 v[208:211], v[120:121], v[146:147], v[208:211]// 0000000075DC: D3CD00D0 07432578
	v_cvt_pkrtz_f16_f32 v75, v78, v79                          // 0000000075E4: D296004B 00029F4E
	v_cvt_pkrtz_f16_f32 v76, v80, v81                          // 0000000075EC: D296004C 0002A350
	v_cvt_pkrtz_f16_f32 v77, v82, v83                          // 0000000075F4: D296004D 0002A752
	v_mfma_f32_16x16x16_f16 v[212:215], v[122:123], v[146:147], v[212:215]// 0000000075FC: D3CD00D4 0753257A
	v_mov_b32_dpp v16, v75 quad_perm:[1,0,3,2] row_mask:0xf bank_mask:0xf// 000000007604: 7E2002FA FF00B14B
	v_perm_b32 v51, v16, v75, v15                              // 00000000760C: D1ED0033 043E9710
	v_mov_b32_dpp v16, v76 quad_perm:[1,0,3,2] row_mask:0xf bank_mask:0xf// 000000007614: 7E2002FA FF00B14C
	v_mfma_f32_16x16x16_f16 v[216:219], v[108:109], v[148:149], v[216:219]// 00000000761C: D3CD00D8 0763296C
	v_perm_b32 v52, v16, v76, v15                              // 000000007624: D1ED0034 043E9910
	v_mov_b32_dpp v16, v77 quad_perm:[1,0,3,2] row_mask:0xf bank_mask:0xf// 00000000762C: 7E2002FA FF00B14D
	v_perm_b32 v53, v16, v77, v15                              // 000000007634: D1ED0035 043E9B10
	v_mfma_f32_16x16x16_f16 v[220:223], v[110:111], v[148:149], v[220:223]// 00000000763C: D3CD00DC 0773296E
	ds_write_b32 v18, v51 offset:20256                         // 000000007644: D81A4F20 00003312
	v_mfma_f32_16x16x16_f16 v[224:227], v[112:113], v[148:149], v[224:227]// 00000000764C: D3CD00E0 07832970
	v_mfma_f32_16x16x16_f16 v[228:231], v[114:115], v[148:149], v[228:231]// 000000007654: D3CD00E4 07932972
	ds_write_b32 v18, v52 offset:22016                         // 00000000765C: D81A5600 00003412
	ds_write_b32 v18, v53 offset:22560                         // 000000007664: D81A5820 00003512
	v_mfma_f32_16x16x16_f16 v[232:235], v[116:117], v[148:149], v[232:235]// 00000000766C: D3CD00E8 07A32974
	v_mfma_f32_16x16x16_f16 v[236:239], v[118:119], v[148:149], v[236:239]// 000000007674: D3CD00EC 07B32976
	ds_write_b32 v13, v84 offset:4352                          // 00000000767C: D81A1100 0000540D
	ds_write_b32 v13, v85 offset:5408                          // 000000007684: D81A1520 0000550D
	v_mfma_f32_16x16x16_f16 v[240:243], v[120:121], v[148:149], v[240:243]// 00000000768C: D3CD00F0 07C32978
	s_nop 0                                                    // 000000007694: BF800000
	s_nop 0                                                    // 000000007698: BF800000
	s_nop 0                                                    // 00000000769C: BF800000
	v_mfma_f32_16x16x16_f16 v[244:247], v[122:123], v[148:149], v[244:247]// 0000000076A0: D3CD00F4 07D3297A
	ds_write_b32 v13, v86 offset:4480                          // 0000000076A8: D81A1180 0000560D
	ds_write_b32 v13, v87 offset:5536                          // 0000000076B0: D81A15A0 0000570D
	s_barrier                                                  // 0000000076B8: BF8A0000
	v_mfma_f32_16x16x16_f16 a[160:163], a[144:145], v[72:73], a[160:163]// 0000000076BC: D3CD80A0 0E829190
	buffer_atomic_add_f32 v136, v7, s[32:35], 0 offen          // 0000000076C4: E1341000 80088807
	v_mfma_f32_16x16x16_f16 a[164:167], a[146:147], v[72:73], a[164:167]// 0000000076CC: D3CD80A4 0E929192
	ds_read_b32 v124, v21 offset:50688                         // 0000000076D4: D86CC600 7C000015
	ds_read_b32 v150, v21 offset:50944                         // 0000000076DC: D86CC700 96000015
	v_mfma_f32_16x16x16_f16 a[168:171], a[148:149], v[72:73], a[168:171]// 0000000076E4: D3CD80A8 0EA29194
	s_waitcnt lgkmcnt(6)                                       // 0000000076EC: BF8CC67F
	s_barrier                                                  // 0000000076F0: BF8A0000
	v_mfma_f32_16x16x16_f16 a[172:175], a[150:151], v[72:73], a[172:175]// 0000000076F4: D3CD80AC 0EB29196
	ds_read_b128 v[48:51], v17 offset:17408                    // 0000000076FC: D9FE4400 30000011
	v_mfma_f32_16x16x16_f16 a[176:179], a[152:153], v[72:73], a[176:179]// 000000007704: D3CD80B0 0EC29198
	v_mfma_f32_16x16x16_f16 a[180:183], a[154:155], v[72:73], a[180:183]// 00000000770C: D3CD80B4 0ED2919A
	ds_read_b128 v[52:55], v17 offset:18560                    // 000000007714: D9FE4880 34000011
	v_mfma_f32_16x16x16_f16 a[184:187], a[156:157], v[72:73], a[184:187]// 00000000771C: D3CD80B8 0EE2919C
	buffer_atomic_add_f32 v137, v8, s[32:35], 0 offen          // 000000007724: E1341000 80088908
	v_mfma_f32_16x16x16_f16 a[188:191], a[158:159], v[72:73], a[188:191]// 00000000772C: D3CD80BC 0EF2919E
	ds_read_b128 v[56:59], v17 offset:19712                    // 000000007734: D9FE4D00 38000011
	v_mfma_f32_16x16x16_f16 a[192:195], a[144:145], v[74:75], a[192:195]// 00000000773C: D3CD80C0 0F029590
	v_mfma_f32_16x16x16_f16 a[196:199], a[146:147], v[74:75], a[196:199]// 000000007744: D3CD80C4 0F129592
	ds_read_b128 v[60:63], v17 offset:20864                    // 00000000774C: D9FE5180 3C000011
	v_mfma_f32_16x16x16_f16 a[200:203], a[148:149], v[74:75], a[200:203]// 000000007754: D3CD80C8 0F229594
	v_mfma_f32_16x16x16_f16 a[204:207], a[150:151], v[74:75], a[204:207]// 00000000775C: D3CD80CC 0F329596
	ds_read_b128 v[64:67], v17 offset:22016                    // 000000007764: D9FE5600 40000011
	v_mfma_f32_16x16x16_f16 a[208:211], a[152:153], v[74:75], a[208:211]// 00000000776C: D3CD80D0 0F429598
	buffer_atomic_add_f32 v138, v7, s[32:35], 0 offen offset:128// 000000007774: E1341080 80088A07
	v_mfma_f32_16x16x16_f16 a[212:215], a[154:155], v[74:75], a[212:215]// 00000000777C: D3CD80D4 0F52959A
	ds_read_b128 v[68:71], v17 offset:23168                    // 000000007784: D9FE5A80 44000011
	v_mfma_f32_16x16x16_f16 a[216:219], a[156:157], v[74:75], a[216:219]// 00000000778C: D3CD80D8 0F62959C
	v_mfma_f32_16x16x16_f16 a[220:223], a[158:159], v[74:75], a[220:223]// 000000007794: D3CD80DC 0F72959E
	ds_write_b32 v13, v88 offset:13056                         // 00000000779C: D81A3300 0000580D
	v_mfma_f32_16x16x16_f16 a[224:227], a[144:145], v[76:77], a[224:227]// 0000000077A4: D3CD80E0 0F829990
	v_mfma_f32_16x16x16_f16 a[228:231], a[146:147], v[76:77], a[228:231]// 0000000077AC: D3CD80E4 0F929992
	ds_write_b32 v13, v89 offset:14112                         // 0000000077B4: D81A3720 0000590D
	v_mfma_f32_16x16x16_f16 a[232:235], a[148:149], v[76:77], a[232:235]// 0000000077BC: D3CD80E8 0FA29994
	buffer_atomic_add_f32 v139, v8, s[32:35], 0 offen offset:128// 0000000077C4: E1341080 80088B08
	v_mfma_f32_16x16x16_f16 a[236:239], a[150:151], v[76:77], a[236:239]// 0000000077CC: D3CD80EC 0FB29996
	ds_write_b32 v13, v90 offset:13184                         // 0000000077D4: D81A3380 00005A0D
	v_mfma_f32_16x16x16_f16 a[240:243], a[152:153], v[76:77], a[240:243]// 0000000077DC: D3CD80F0 0FC29998
	v_mfma_f32_16x16x16_f16 a[244:247], a[154:155], v[76:77], a[244:247]// 0000000077E4: D3CD80F4 0FD2999A
	ds_write_b32 v13, v91 offset:14240                         // 0000000077EC: D81A37A0 00005B0D
	v_mfma_f32_16x16x16_f16 a[248:251], a[156:157], v[76:77], a[248:251]// 0000000077F4: D3CD80F8 0FE2999C
	v_mfma_f32_16x16x16_f16 a[252:255], a[158:159], v[76:77], a[252:255]// 0000000077FC: D3CD80FC 0FF2999E
	s_waitcnt vmcnt(8) lgkmcnt(4)                              // 000000007804: BF8C0478
	s_barrier                                                  // 000000007808: BF8A0000
	v_mfma_f32_16x16x16_f16 v[128:131], v[48:49], a[48:49], 0  // 00000000780C: D3CD0080 12026130
	v_mul_f32_e32 v124, s48, v124                              // 000000007814: 0AF8F830
	s_nop 0                                                    // 000000007818: BF800000
	v_mfma_f32_16x16x16_f16 v[128:131], v[50:51], a[52:53], v[128:131]// 00000000781C: D3CD0080 16026932
	ds_read_b128 a[144:147], v10                               // 000000007824: DBFE0000 9000000A
	v_mov_b32_e32 v32, 0                                       // 00000000782C: 7E400280
	s_mov_b64 exec, s[76:77]                                   // 000000007830: BEFE014C
	buffer_load_dword v32, v1, s[8:11], 0 idxen                // 000000007834: E0502000 80022001
	s_mov_b64 exec, s[84:85]                                   // 00000000783C: BEFE0154
	v_mfma_f32_16x16x16_f16 v[128:131], v[52:53], a[56:57], v[128:131]// 000000007840: D3CD0080 16027134
	v_mfma_f32_16x16x16_f16 v[128:131], v[54:55], a[60:61], v[128:131]// 000000007848: D3CD0080 16027936
	ds_read_b128 a[148:151], v10 offset:512                    // 000000007850: DBFE0200 9400000A
	v_mov_b32_e32 v33, 0                                       // 000000007858: 7E420280
	s_mov_b64 exec, s[76:77]                                   // 00000000785C: BEFE014C
	buffer_load_dword v33, v2, s[8:11], 0 idxen                // 000000007860: E0502000 80022102
	s_mov_b64 exec, s[84:85]                                   // 000000007868: BEFE0154
	v_mfma_f32_16x16x16_f16 v[128:131], v[56:57], a[64:65], v[128:131]// 00000000786C: D3CD0080 16028138
	v_perm_b32 v84, v37, v36, s63                              // 000000007874: D1ED0054 00FE4925
	v_perm_b32 v85, v37, v36, s64                              // 00000000787C: D1ED0055 01024925
	v_mfma_f32_16x16x16_f16 v[128:131], v[58:59], a[68:69], v[128:131]// 000000007884: D3CD0080 1602893A
	ds_read_b128 a[152:155], v10 offset:2176                   // 00000000788C: DBFE0880 9800000A
	v_mov_b32_e32 v34, 0                                       // 000000007894: 7E440280
	s_mov_b64 exec, s[76:77]                                   // 000000007898: BEFE014C
	buffer_load_dword v34, v3, s[8:11], 0 idxen                // 00000000789C: E0502000 80022203
	s_mov_b64 exec, s[84:85]                                   // 0000000078A4: BEFE0154
	v_mfma_f32_16x16x16_f16 v[128:131], v[60:61], a[72:73], v[128:131]// 0000000078A8: D3CD0080 1602913C
	v_perm_b32 v86, v39, v38, s63                              // 0000000078B0: D1ED0056 00FE4D27
	v_perm_b32 v87, v39, v38, s64                              // 0000000078B8: D1ED0057 01024D27
	v_mfma_f32_16x16x16_f16 v[128:131], v[62:63], a[76:77], v[128:131]// 0000000078C0: D3CD0080 1602993E
	ds_read_b128 a[156:159], v10 offset:2688                   // 0000000078C8: DBFE0A80 9C00000A
	v_mov_b32_e32 v35, 0                                       // 0000000078D0: 7E460280
	s_mov_b64 exec, s[76:77]                                   // 0000000078D4: BEFE014C
	buffer_load_dword v35, v4, s[8:11], 0 idxen                // 0000000078D8: E0502000 80022304
	s_mov_b64 exec, s[84:85]                                   // 0000000078E0: BEFE0154
	v_mfma_f32_16x16x16_f16 v[128:131], v[64:65], a[80:81], v[128:131]// 0000000078E4: D3CD0080 1602A140
	v_perm_b32 v88, v45, v44, s63                              // 0000000078EC: D1ED0058 00FE592D
	v_perm_b32 v89, v45, v44, s64                              // 0000000078F4: D1ED0059 0102592D
	v_mfma_f32_16x16x16_f16 v[128:131], v[66:67], a[84:85], v[128:131]// 0000000078FC: D3CD0080 1602A942
	ds_read_b128 v[92:95], v10 offset:8704                     // 000000007904: D9FE2200 5C00000A
	v_mov_b32_e32 v40, 0                                       // 00000000790C: 7E500280
	s_mov_b64 exec, s[76:77]                                   // 000000007910: BEFE014C
	buffer_load_dword v40, v248, s[20:23], 0 idxen             // 000000007914: E0502000 800528F8
	s_mov_b64 exec, s[84:85]                                   // 00000000791C: BEFE0154
	v_mfma_f32_16x16x16_f16 v[128:131], v[68:69], a[88:89], v[128:131]// 000000007920: D3CD0080 1602B144
	v_perm_b32 v90, v47, v46, s63                              // 000000007928: D1ED005A 00FE5D2F
	v_perm_b32 v91, v47, v46, s64                              // 000000007930: D1ED005B 01025D2F
	v_mfma_f32_16x16x16_f16 v[128:131], v[70:71], a[92:93], v[128:131]// 000000007938: D3CD0080 1602B946
	ds_read_b128 v[96:99], v10 offset:9216                     // 000000007940: D9FE2400 6000000A
	v_mov_b32_e32 v41, 0                                       // 000000007948: 7E520280
	s_mov_b64 exec, s[76:77]                                   // 00000000794C: BEFE014C
	buffer_load_dword v41, v249, s[20:23], 0 idxen             // 000000007950: E0502000 800529F9
	s_mov_b64 exec, s[84:85]                                   // 000000007958: BEFE0154
	v_mfma_f32_16x16x16_f16 v[132:135], v[48:49], a[50:51], 0  // 00000000795C: D3CD0084 12026530
	v_mov_b32_dpp v127, v124 quad_perm:[3,3,3,3] row_mask:0xf bank_mask:0xf// 000000007964: 7EFE02FA FF00FF7C
	v_mov_b32_dpp v126, v124 quad_perm:[2,2,2,2] row_mask:0xf bank_mask:0xf// 00000000796C: 7EFC02FA FF00AA7C
	v_mfma_f32_16x16x16_f16 v[132:135], v[50:51], a[54:55], v[132:135]// 000000007974: D3CD0084 16126D32
	ds_read_b128 v[100:103], v10 offset:10880                  // 00000000797C: D9FE2A80 6400000A
	v_mov_b32_e32 v42, 0                                       // 000000007984: 7E540280
	s_mov_b64 exec, s[76:77]                                   // 000000007988: BEFE014C
	buffer_load_dword v42, v250, s[20:23], 0 idxen             // 00000000798C: E0502000 80052AFA
	s_mov_b64 exec, s[84:85]                                   // 000000007994: BEFE0154
	v_mfma_f32_16x16x16_f16 v[132:135], v[52:53], a[58:59], v[132:135]// 000000007998: D3CD0084 16127534
	v_mov_b32_dpp v125, v124 quad_perm:[1,1,1,1] row_mask:0xf bank_mask:0xf// 0000000079A0: 7EFA02FA FF00557C
	v_mov_b32_dpp v124, v124 quad_perm:[0,0,0,0] row_mask:0xf bank_mask:0xf// 0000000079A8: 7EF802FA FF00007C
	s_add_u32 s60, 64, s59                                     // 0000000079B0: 803C3BC0
	v_mfma_f32_16x16x16_f16 v[132:135], v[54:55], a[62:63], v[132:135]// 0000000079B4: D3CD0084 16127D36
	ds_read_b128 v[104:107], v10 offset:11392                  // 0000000079BC: D9FE2C80 6800000A
	v_mov_b32_e32 v43, 0                                       // 0000000079C4: 7E560280
	s_mov_b64 exec, s[76:77]                                   // 0000000079C8: BEFE014C
	buffer_load_dword v43, v251, s[20:23], 0 idxen             // 0000000079CC: E0502000 80052BFB
	s_mov_b64 exec, s[84:85]                                   // 0000000079D4: BEFE0154
	v_mfma_f32_16x16x16_f16 v[132:135], v[56:57], a[66:67], v[132:135]// 0000000079D8: D3CD0084 16128538
	s_cmp_lt_u32 s60, s58                                      // 0000000079E0: BF0A3A3C
	s_cselect_b32 s68, s68, 0                                  // 0000000079E4: 85448044
	s_cselect_b32 s101, s101, 0                                // 0000000079E8: 85658065
	s_cselect_b32 s69, s69, 0                                  // 0000000079EC: 85458045
	v_mfma_f32_16x16x16_f16 v[132:135], v[58:59], a[70:71], v[132:135]// 0000000079F0: D3CD0084 16128D3A
	buffer_load_dword v9, s[24:27], 0 idxen lds                // 0000000079F8: E0512000 80060009
	v_mfma_f32_16x16x16_f16 v[132:135], v[60:61], a[74:75], v[132:135]// 000000007A00: D3CD0084 1612953C
	v_add_u32_e32 v1, s68, v1                                  // 000000007A08: 68020244
	v_add_u32_e32 v2, s68, v2                                  // 000000007A0C: 68040444
	v_add_u32_e32 v3, s68, v3                                  // 000000007A10: 68060644
	v_add_u32_e32 v4, s68, v4                                  // 000000007A14: 68080844
	v_mfma_f32_16x16x16_f16 v[132:135], v[62:63], a[78:79], v[132:135]// 000000007A18: D3CD0084 16129D3E
	v_add_u32_e32 v248, s101, v248                             // 000000007A20: 69F1F065
	v_add_u32_e32 v249, s101, v249                             // 000000007A24: 69F3F265
	v_add_u32_e32 v250, s101, v250                             // 000000007A28: 69F5F465
	v_add_u32_e32 v251, s101, v251                             // 000000007A2C: 69F7F665
	v_mfma_f32_16x16x16_f16 v[132:135], v[64:65], a[82:83], v[132:135]// 000000007A30: D3CD0084 1612A540
	s_mov_b32 m0, s75                                          // 000000007A38: BEFC004B
	v_add_u32_e32 v9, s69, v9                                  // 000000007A3C: 68121245
	v_mfma_f32_16x16x16_f16 v[132:135], v[66:67], a[86:87], v[132:135]// 000000007A40: D3CD0084 1612AD42
	s_cmp_ge_u32 s59, 16                                       // 000000007A48: BF09903B
	s_cselect_b32 s66, s67, s66                                // 000000007A4C: 85424243
	v_mfma_f32_16x16x16_f16 v[132:135], v[68:69], a[90:91], v[132:135]// 000000007A50: D3CD0084 1612B544
	s_addk_i32 s59, 0x10                                       // 000000007A58: B73B0010
	s_nop 0                                                    // 000000007A5C: BF800000
	s_cmp_lt_i32 s59, s58                                      // 000000007A60: BF043A3B
	v_mfma_f32_16x16x16_f16 v[132:135], v[70:71], a[94:95], v[132:135]// 000000007A64: D3CD0084 1612BD46
	s_cbranch_scc0 label_0F27                                  // 000000007A6C: BF840001
	s_branch label_09D2                                        // 000000007A70: BF82FAB5

0000000000007a74 <label_0F27>:
	s_nop 0                                                    // 000000007A74: BF800000
	s_nop 0                                                    // 000000007A78: BF800000
	s_branch label_147F                                        // 000000007A7C: BF82054B

0000000000007a80 <label_0F2A>:
	s_waitcnt lgkmcnt(0)                                       // 000000007A80: BF8CC07F
	s_barrier                                                  // 000000007A84: BF8A0000
	v_mfma_f32_16x16x16_f16 v[48:51], a[144:145], a[0:1], 0    // 000000007A88: D3CD0030 1A020190
	v_mul_f32_e32 v128, s47, v128                              // 000000007A90: 0B01002F
	v_mul_f32_e32 v129, s47, v129                              // 000000007A94: 0B03022F
	v_mfma_f32_16x16x16_f16 v[48:51], a[146:147], a[2:3], v[48:51]// 000000007A98: D3CD0030 1CC20592
	ds_write_b32 v11, v44 offset:8704                          // 000000007AA0: D81A2200 00002C0B
	ds_write_b32 v11, v45 offset:9760                          // 000000007AA8: D81A2620 00002D0B
	v_mfma_f32_16x16x16_f16 v[48:51], a[148:149], a[4:5], v[48:51]// 000000007AB0: D3CD0030 1CC20994
	v_mul_f32_e32 v130, s47, v130                              // 000000007AB8: 0B05042F
	v_mul_f32_e32 v131, s47, v131                              // 000000007ABC: 0B07062F
	v_mfma_f32_16x16x16_f16 v[48:51], a[150:151], a[6:7], v[48:51]// 000000007AC0: D3CD0030 1CC20D96
	ds_write_b32 v11, v46 offset:8832                          // 000000007AC8: D81A2280 00002E0B
	ds_write_b32 v11, v47 offset:9888                          // 000000007AD0: D81A26A0 00002F0B
	v_mfma_f32_16x16x16_f16 v[48:51], a[152:153], a[8:9], v[48:51]// 000000007AD8: D3CD0030 1CC21198
	v_mul_f32_e32 v132, s47, v132                              // 000000007AE0: 0B09082F
	v_mul_f32_e32 v133, s47, v133                              // 000000007AE4: 0B0B0A2F
	v_mfma_f32_16x16x16_f16 v[48:51], a[154:155], a[10:11], v[48:51]// 000000007AE8: D3CD0030 1CC2159A
	ds_write_b64 v20, v[128:129] offset:24320                  // 000000007AF0: D89A5F00 00008014
	v_mfma_f32_16x16x16_f16 v[48:51], a[156:157], a[12:13], v[48:51]// 000000007AF8: D3CD0030 1CC2199C
	v_mul_f32_e32 v134, s47, v134                              // 000000007B00: 0B0D0C2F
	v_mul_f32_e32 v135, s47, v135                              // 000000007B04: 0B0F0E2F
	v_mfma_f32_16x16x16_f16 v[48:51], a[158:159], a[14:15], v[48:51]// 000000007B08: D3CD0030 1CC21D9E
	ds_write_b64 v20, v[130:131] offset:24832                  // 000000007B10: D89A6100 00008214
	v_mfma_f32_16x16x16_f16 v[52:55], a[144:145], a[16:17], 0  // 000000007B18: D3CD0034 1A022190
	buffer_atomic_add_f32 v140, v7, s[32:35], 0 offen offset:256// 000000007B20: E1341100 80088C07
	v_mfma_f32_16x16x16_f16 v[52:55], a[146:147], a[18:19], v[52:55]// 000000007B28: D3CD0034 1CD22592
	ds_write_b64 v20, v[132:133] offset:25344                  // 000000007B30: D89A6300 00008414
	v_mfma_f32_16x16x16_f16 v[52:55], a[148:149], a[20:21], v[52:55]// 000000007B38: D3CD0034 1CD22994
	v_mfma_f32_16x16x16_f16 v[52:55], a[150:151], a[22:23], v[52:55]// 000000007B40: D3CD0034 1CD22D96
	ds_write_b64 v20, v[134:135] offset:25856                  // 000000007B48: D89A6500 00008614
	v_mfma_f32_16x16x16_f16 v[52:55], a[152:153], a[24:25], v[52:55]// 000000007B50: D3CD0034 1CD23198
	buffer_atomic_add_f32 v141, v8, s[32:35], 0 offen offset:256// 000000007B58: E1341100 80088D08
	v_mfma_f32_16x16x16_f16 v[52:55], a[154:155], a[26:27], v[52:55]// 000000007B60: D3CD0034 1CD2359A
	ds_read_b128 v[108:111], v12 offset:13056                  // 000000007B68: D9FE3300 6C00000C
	ds_write_b32 v11, v36                                      // 000000007B70: D81A0000 0000240B
	v_mfma_f32_16x16x16_f16 v[52:55], a[156:157], a[28:29], v[52:55]// 000000007B78: D3CD0034 1CD2399C
	v_mfma_f32_16x16x16_f16 v[52:55], a[158:159], a[30:31], v[52:55]// 000000007B80: D3CD0034 1CD23D9E
	v_mfma_f32_16x16x16_f16 v[56:59], a[144:145], a[32:33], 0  // 000000007B88: D3CD0038 1A024190
	ds_read_b128 v[112:115], v12 offset:13568                  // 000000007B90: D9FE3500 7000000C
	ds_write_b32 v11, v37 offset:1056                          // 000000007B98: D81A0420 0000250B
	v_mfma_f32_16x16x16_f16 v[56:59], a[146:147], a[34:35], v[56:59]// 000000007BA0: D3CD0038 1CE24592
	buffer_atomic_add_f32 v142, v7, s[32:35], 0 offen offset:384// 000000007BA8: E1341180 80088E07
	v_mfma_f32_16x16x16_f16 v[56:59], a[148:149], a[36:37], v[56:59]// 000000007BB0: D3CD0038 1CE24994
	v_mfma_f32_16x16x16_f16 v[56:59], a[150:151], a[38:39], v[56:59]// 000000007BB8: D3CD0038 1CE24D96
	ds_read_b128 v[116:119], v12 offset:15232                  // 000000007BC0: D9FE3B80 7400000C
	ds_write_b32 v11, v38 offset:128                           // 000000007BC8: D81A0080 0000260B
	v_mfma_f32_16x16x16_f16 v[56:59], a[152:153], a[40:41], v[56:59]// 000000007BD0: D3CD0038 1CE25198
	v_mfma_f32_16x16x16_f16 v[56:59], a[154:155], a[42:43], v[56:59]// 000000007BD8: D3CD0038 1CE2559A
	buffer_atomic_add_f32 v143, v8, s[32:35], 0 offen offset:384// 000000007BE0: E1341180 80088F08
	v_mfma_f32_16x16x16_f16 v[56:59], a[156:157], a[44:45], v[56:59]// 000000007BE8: D3CD0038 1CE2599C
	ds_read_b128 v[120:123], v12 offset:15744                  // 000000007BF0: D9FE3D80 7800000C
	ds_write_b32 v11, v39 offset:1184                          // 000000007BF8: D81A04A0 0000270B
	v_mfma_f32_16x16x16_f16 v[56:59], a[158:159], a[46:47], v[56:59]// 000000007C00: D3CD0038 1CE25D9E
	s_cmp_lt_i32 s81, 0xc0                                     // 000000007C08: BF04FF51 000000C0
	s_cbranch_scc0 label_0FE1                                  // 000000007C10: BF84004D
	s_cmp_le_i32 s81, 64                                       // 000000007C14: BF05C051
	s_cbranch_scc1 label_0F98                                  // 000000007C18: BF850007
	s_cmp_le_i32 s81, 0x80                                     // 000000007C1C: BF05FF51 00000080
	s_cbranch_scc1 label_0FB0                                  // 000000007C24: BF850017
	s_cmp_lt_i32 s81, 0xc0                                     // 000000007C28: BF04FF51 000000C0
	s_cbranch_scc1 label_0FC8                                  // 000000007C30: BF85002C
	s_branch label_0FE1                                        // 000000007C34: BF820044

0000000000007c38 <label_0F98>:
	s_mov_b32 s60, 0                                           // 000000007C38: BEBC0080
	v_and_b32_e32 v28, 15, v0                                  // 000000007C3C: 2638008F
	v_add_u32_e64 v28, v28, s60                                // 000000007C40: D134001C 0000791C
	v_mul_i32_i24_e64 v29, s46, 16                             // 000000007C48: D106001D 0001202E
	v_add_u32_e32 v28, v28, v29                                // 000000007C50: 68383B1C
	v_cmp_lt_u32_e64 s[60:61], v28, s81                        // 000000007C54: D0C9003C 0000A31C
	s_nop 1                                                    // 000000007C5C: BF800001
	v_cndmask_b32_e64 v48, v151, v48, s[60:61]                 // 000000007C60: D1000030 00F26197
	v_cndmask_b32_e64 v49, v151, v49, s[60:61]                 // 000000007C68: D1000031 00F26397
	v_cndmask_b32_e64 v50, v151, v50, s[60:61]                 // 000000007C70: D1000032 00F26597
	v_cndmask_b32_e64 v51, v151, v51, s[60:61]                 // 000000007C78: D1000033 00F26797
	s_branch label_0FC3                                        // 000000007C80: BF820013

0000000000007c84 <label_0FB0>:
	s_mov_b32 s60, 64                                          // 000000007C84: BEBC00C0
	v_and_b32_e32 v28, 15, v0                                  // 000000007C88: 2638008F
	v_add_u32_e64 v28, v28, s60                                // 000000007C8C: D134001C 0000791C
	v_mul_i32_i24_e64 v29, s46, 16                             // 000000007C94: D106001D 0001202E
	v_add_u32_e32 v28, v28, v29                                // 000000007C9C: 68383B1C
	v_cmp_lt_u32_e64 s[60:61], v28, s81                        // 000000007CA0: D0C9003C 0000A31C
	s_nop 1                                                    // 000000007CA8: BF800001
	v_cndmask_b32_e64 v52, v151, v52, s[60:61]                 // 000000007CAC: D1000034 00F26997
	v_cndmask_b32_e64 v53, v151, v53, s[60:61]                 // 000000007CB4: D1000035 00F26B97
	v_cndmask_b32_e64 v54, v151, v54, s[60:61]                 // 000000007CBC: D1000036 00F26D97
	v_cndmask_b32_e64 v55, v151, v55, s[60:61]                 // 000000007CC4: D1000037 00F26F97
	s_branch label_0FDC                                        // 000000007CCC: BF820019

0000000000007cd0 <label_0FC3>:
	v_mov_b32_e32 v52, v151                                    // 000000007CD0: 7E680397
	v_mov_b32_e32 v53, v151                                    // 000000007CD4: 7E6A0397
	v_mov_b32_e32 v54, v151                                    // 000000007CD8: 7E6C0397
	v_mov_b32_e32 v55, v151                                    // 000000007CDC: 7E6E0397
	s_branch label_0FDC                                        // 000000007CE0: BF820014

0000000000007ce4 <label_0FC8>:
	s_mov_b32 s60, 0x80                                        // 000000007CE4: BEBC00FF 00000080
	v_and_b32_e32 v28, 15, v0                                  // 000000007CEC: 2638008F
	v_add_u32_e64 v28, v28, s60                                // 000000007CF0: D134001C 0000791C
	v_mul_i32_i24_e64 v29, s46, 16                             // 000000007CF8: D106001D 0001202E
	v_add_u32_e32 v28, v28, v29                                // 000000007D00: 68383B1C
	v_cmp_lt_u32_e64 s[60:61], v28, s81                        // 000000007D04: D0C9003C 0000A31C
	s_nop 1                                                    // 000000007D0C: BF800001
	v_cndmask_b32_e64 v56, v151, v56, s[60:61]                 // 000000007D10: D1000038 00F27197
	v_cndmask_b32_e64 v57, v151, v57, s[60:61]                 // 000000007D18: D1000039 00F27397
	v_cndmask_b32_e64 v58, v151, v58, s[60:61]                 // 000000007D20: D100003A 00F27597
	v_cndmask_b32_e64 v59, v151, v59, s[60:61]                 // 000000007D28: D100003B 00F27797
	s_branch label_0FE1                                        // 000000007D30: BF820005

0000000000007d34 <label_0FDC>:
	v_mov_b32_e32 v56, v151                                    // 000000007D34: 7E700397
	v_mov_b32_e32 v57, v151                                    // 000000007D38: 7E720397
	v_mov_b32_e32 v58, v151                                    // 000000007D3C: 7E740397
	v_mov_b32_e32 v59, v151                                    // 000000007D40: 7E760397
	s_branch label_0FE1                                        // 000000007D44: BF820000

0000000000007d48 <label_0FE1>:
	s_waitcnt lgkmcnt(8)                                       // 000000007D48: BF8CC87F
	s_barrier                                                  // 000000007D4C: BF8A0000
	v_mfma_f32_16x16x16_f16 v[72:75], v[92:93], a[96:97], 0    // 000000007D50: D3CD0048 1202C15C
	v_fma_f32 v48, v48, s57, -v124                             // 000000007D58: D1CB0030 85F07330
	v_fma_f32 v49, v49, s57, -v125                             // 000000007D60: D1CB0031 85F47331
	v_fma_f32 v50, v50, s57, -v126                             // 000000007D68: D1CB0032 85F87332
	v_mfma_f32_16x16x16_f16 v[72:75], v[94:95], a[98:99], v[72:75]// 000000007D70: D3CD0048 1522C55E
	ds_read_b128 a[144:147], v12 offset:4352                   // 000000007D78: DBFE1100 9000000C
	ds_read_b128 a[148:151], v12 offset:4864                   // 000000007D80: DBFE1300 9400000C
	v_mfma_f32_16x16x16_f16 v[72:75], v[96:97], a[100:101], v[72:75]// 000000007D88: D3CD0048 1522C960
	v_fma_f32 v51, v51, s57, -v127                             // 000000007D90: D1CB0033 85FC7333
	v_fma_f32 v52, v52, s57, -v124                             // 000000007D98: D1CB0034 85F07334
	v_fma_f32 v53, v53, s57, -v125                             // 000000007DA0: D1CB0035 85F47335
	v_mfma_f32_16x16x16_f16 v[72:75], v[98:99], a[102:103], v[72:75]// 000000007DA8: D3CD0048 1522CD62
	v_fma_f32 v54, v54, s57, -v126                             // 000000007DB0: D1CB0036 85F87336
	v_fma_f32 v55, v55, s57, -v127                             // 000000007DB8: D1CB0037 85FC7337
	v_fma_f32 v56, v56, s57, -v124                             // 000000007DC0: D1CB0038 85F07338
	v_mfma_f32_16x16x16_f16 v[72:75], v[100:101], a[104:105], v[72:75]// 000000007DC8: D3CD0048 1522D164
	v_fma_f32 v57, v57, s57, -v125                             // 000000007DD0: D1CB0039 85F47339
	v_fma_f32 v58, v58, s57, -v126                             // 000000007DD8: D1CB003A 85F8733A
	v_fma_f32 v59, v59, s57, -v127                             // 000000007DE0: D1CB003B 85FC733B
	v_mfma_f32_16x16x16_f16 v[72:75], v[102:103], a[106:107], v[72:75]// 000000007DE8: D3CD0048 1522D566
	ds_read_b128 a[152:155], v12 offset:6528                   // 000000007DF0: DBFE1980 9800000C
	ds_read_b128 a[156:159], v12 offset:7040                   // 000000007DF8: DBFE1B80 9C00000C
	v_mfma_f32_16x16x16_f16 v[72:75], v[104:105], a[108:109], v[72:75]// 000000007E00: D3CD0048 1522D968
	v_exp_f32_e32 v48, v48                                     // 000000007E08: 7E604130
	v_mfma_f32_16x16x16_f16 v[72:75], v[106:107], a[110:111], v[72:75]// 000000007E0C: D3CD0048 1522DD6A
	v_exp_f32_e32 v49, v49                                     // 000000007E14: 7E624131
	v_mfma_f32_16x16x16_f16 v[76:79], v[92:93], a[112:113], 0  // 000000007E18: D3CD004C 1202E15C
	v_exp_f32_e32 v50, v50                                     // 000000007E20: 7E644132
	v_mfma_f32_16x16x16_f16 v[76:79], v[94:95], a[114:115], v[76:79]// 000000007E24: D3CD004C 1532E55E
	ds_read_b64 v[136:137], v19 offset:24320                   // 000000007E2C: D8EC5F00 88000013
	ds_read_b64 v[138:139], v19 offset:26368                   // 000000007E34: D8EC6700 8A000013
	v_mfma_f32_16x16x16_f16 v[76:79], v[96:97], a[116:117], v[76:79]// 000000007E3C: D3CD004C 1532E960
	v_exp_f32_e32 v51, v51                                     // 000000007E44: 7E664133
	v_mfma_f32_16x16x16_f16 v[76:79], v[98:99], a[118:119], v[76:79]// 000000007E48: D3CD004C 1532ED62
	ds_read_b64 v[140:141], v19 offset:28416                   // 000000007E50: D8EC6F00 8C000013
	ds_read_b64 v[142:143], v19 offset:30464                   // 000000007E58: D8EC7700 8E000013
	v_mfma_f32_16x16x16_f16 v[76:79], v[100:101], a[120:121], v[76:79]// 000000007E60: D3CD004C 1532F164
	v_exp_f32_e32 v52, v52                                     // 000000007E68: 7E684134
	v_mfma_f32_16x16x16_f16 v[76:79], v[102:103], a[122:123], v[76:79]// 000000007E6C: D3CD004C 1532F566
	v_exp_f32_e32 v53, v53                                     // 000000007E74: 7E6A4135
	v_mfma_f32_16x16x16_f16 v[76:79], v[104:105], a[124:125], v[76:79]// 000000007E78: D3CD004C 1532F968
	v_exp_f32_e32 v54, v54                                     // 000000007E80: 7E6C4136
	v_mfma_f32_16x16x16_f16 v[76:79], v[106:107], a[126:127], v[76:79]// 000000007E84: D3CD004C 1532FD6A
	v_exp_f32_e32 v55, v55                                     // 000000007E8C: 7E6E4137
	v_mfma_f32_16x16x16_f16 v[80:83], v[92:93], a[128:129], 0  // 000000007E90: D3CD0050 1203015C
	v_exp_f32_e32 v56, v56                                     // 000000007E98: 7E704138
	v_mfma_f32_16x16x16_f16 v[80:83], v[94:95], a[130:131], v[80:83]// 000000007E9C: D3CD0050 1543055E
	v_exp_f32_e32 v57, v57                                     // 000000007EA4: 7E724139
	v_mfma_f32_16x16x16_f16 v[80:83], v[96:97], a[132:133], v[80:83]// 000000007EA8: D3CD0050 15430960
	v_exp_f32_e32 v58, v58                                     // 000000007EB0: 7E74413A
	v_mfma_f32_16x16x16_f16 v[80:83], v[98:99], a[134:135], v[80:83]// 000000007EB4: D3CD0050 15430D62
	v_exp_f32_e32 v59, v59                                     // 000000007EBC: 7E76413B
	v_mfma_f32_16x16x16_f16 v[80:83], v[100:101], a[136:137], v[80:83]// 000000007EC0: D3CD0050 15431164
	v_cvt_pkrtz_f16_f32 v144, v48, v49                         // 000000007EC8: D2960090 00026330
	v_cvt_pkrtz_f16_f32 v145, v50, v51                         // 000000007ED0: D2960091 00026732
	v_cvt_pkrtz_f16_f32 v146, v52, v53                         // 000000007ED8: D2960092 00026B34
	v_mfma_f32_16x16x16_f16 v[80:83], v[102:103], a[138:139], v[80:83]// 000000007EE0: D3CD0050 15431566
	v_cvt_pkrtz_f16_f32 v147, v54, v55                         // 000000007EE8: D2960093 00026F36
	v_cvt_pkrtz_f16_f32 v148, v56, v57                         // 000000007EF0: D2960094 00027338
	v_cvt_pkrtz_f16_f32 v149, v58, v59                         // 000000007EF8: D2960095 0002773A
	v_mfma_f32_16x16x16_f16 v[80:83], v[104:105], a[140:141], v[80:83]// 000000007F00: D3CD0050 15431968
	v_add_u32_e32 v7, s66, v7                                  // 000000007F08: 680E0E42
	v_add_u32_e32 v8, s66, v8                                  // 000000007F0C: 68101042
	v_mfma_f32_16x16x16_f16 v[80:83], v[106:107], a[142:143], v[80:83]// 000000007F10: D3CD0050 15431D6A
	s_waitcnt lgkmcnt(0)                                       // 000000007F18: BF8CC07F
	s_barrier                                                  // 000000007F1C: BF8A0000
	v_mfma_f32_16x16x16_f16 v[152:155], v[108:109], v[144:145], v[152:155]// 000000007F20: D3CD0098 0663216C
	v_subrev_f32_dpp v72, v150, v72 quad_perm:[0,0,0,0] row_mask:0xf bank_mask:0xf// 000000007F28: 069090FA FF000096
	v_subrev_f32_dpp v73, v150, v73 quad_perm:[1,1,1,1] row_mask:0xf bank_mask:0xf// 000000007F30: 069292FA FF005596
	v_subrev_f32_dpp v74, v150, v74 quad_perm:[2,2,2,2] row_mask:0xf bank_mask:0xf// 000000007F38: 069494FA FF00AA96
	v_mfma_f32_16x16x16_f16 v[156:159], v[110:111], v[144:145], v[156:159]// 000000007F40: D3CD009C 0673216E
	v_subrev_f32_dpp v75, v150, v75 quad_perm:[3,3,3,3] row_mask:0xf bank_mask:0xf// 000000007F48: 069696FA FF00FF96
	v_subrev_f32_dpp v76, v150, v76 quad_perm:[0,0,0,0] row_mask:0xf bank_mask:0xf// 000000007F50: 069898FA FF000096
	v_subrev_f32_dpp v77, v150, v77 quad_perm:[1,1,1,1] row_mask:0xf bank_mask:0xf// 000000007F58: 069A9AFA FF005596
	v_mfma_f32_16x16x16_f16 v[160:163], v[112:113], v[144:145], v[160:163]// 000000007F60: D3CD00A0 06832170
	v_mul_f32_e32 v72, v48, v72                                // 000000007F68: 0A909130
	v_mul_f32_e32 v73, v49, v73                                // 000000007F6C: 0A929331
	v_mul_f32_e32 v74, v50, v74                                // 000000007F70: 0A949532
	v_mfma_f32_16x16x16_f16 v[164:167], v[114:115], v[144:145], v[164:167]// 000000007F74: D3CD00A4 06932172
	v_mul_f32_e32 v75, v51, v75                                // 000000007F7C: 0A969733
	v_mul_f32_e32 v76, v52, v76                                // 000000007F80: 0A989934
	v_mul_f32_e32 v77, v53, v77                                // 000000007F84: 0A9A9B35
	v_mfma_f32_16x16x16_f16 v[168:171], v[116:117], v[144:145], v[168:171]// 000000007F88: D3CD00A8 06A32174
	v_cvt_pkrtz_f16_f32 v72, v72, v73                          // 000000007F90: D2960048 00029348
	v_cvt_pkrtz_f16_f32 v73, v74, v75                          // 000000007F98: D2960049 0002974A
	v_cvt_pkrtz_f16_f32 v74, v76, v77                          // 000000007FA0: D296004A 00029B4C
	v_mfma_f32_16x16x16_f16 v[172:175], v[118:119], v[144:145], v[172:175]// 000000007FA8: D3CD00AC 06B32176
	v_mov_b32_dpp v16, v72 quad_perm:[1,0,3,2] row_mask:0xf bank_mask:0xf// 000000007FB0: 7E2002FA FF00B148
	v_perm_b32 v48, v16, v72, v15                              // 000000007FB8: D1ED0030 043E9110
	v_mov_b32_dpp v16, v73 quad_perm:[1,0,3,2] row_mask:0xf bank_mask:0xf// 000000007FC0: 7E2002FA FF00B149
	v_mfma_f32_16x16x16_f16 v[176:179], v[120:121], v[144:145], v[176:179]// 000000007FC8: D3CD00B0 06C32178
	ds_write_b32 v18, v48 offset:17408                         // 000000007FD0: D81A4400 00003012
	v_mfma_f32_16x16x16_f16 v[180:183], v[122:123], v[144:145], v[180:183]// 000000007FD8: D3CD00B4 06D3217A
	v_perm_b32 v49, v16, v73, v15                              // 000000007FE0: D1ED0031 043E9310
	v_mov_b32_dpp v16, v74 quad_perm:[1,0,3,2] row_mask:0xf bank_mask:0xf// 000000007FE8: 7E2002FA FF00B14A
	v_perm_b32 v50, v16, v74, v15                              // 000000007FF0: D1ED0032 043E9510
	v_mfma_f32_16x16x16_f16 v[184:187], v[108:109], v[146:147], v[184:187]// 000000007FF8: D3CD00B8 06E3256C
	ds_write_b32 v18, v49 offset:17952                         // 000000008000: D81A4620 00003112
	v_mfma_f32_16x16x16_f16 v[188:191], v[110:111], v[146:147], v[188:191]// 000000008008: D3CD00BC 06F3256E
	v_subrev_f32_dpp v78, v150, v78 quad_perm:[2,2,2,2] row_mask:0xf bank_mask:0xf// 000000008010: 069C9CFA FF00AA96
	v_subrev_f32_dpp v79, v150, v79 quad_perm:[3,3,3,3] row_mask:0xf bank_mask:0xf// 000000008018: 069E9EFA FF00FF96
	v_subrev_f32_dpp v80, v150, v80 quad_perm:[0,0,0,0] row_mask:0xf bank_mask:0xf// 000000008020: 06A0A0FA FF000096
	v_mfma_f32_16x16x16_f16 v[192:195], v[112:113], v[146:147], v[192:195]// 000000008028: D3CD00C0 07032570
	ds_write_b32 v18, v50 offset:19712                         // 000000008030: D81A4D00 00003212
	v_mfma_f32_16x16x16_f16 v[196:199], v[114:115], v[146:147], v[196:199]// 000000008038: D3CD00C4 07132572
	v_subrev_f32_dpp v81, v150, v81 quad_perm:[1,1,1,1] row_mask:0xf bank_mask:0xf// 000000008040: 06A2A2FA FF005596
	v_subrev_f32_dpp v82, v150, v82 quad_perm:[2,2,2,2] row_mask:0xf bank_mask:0xf// 000000008048: 06A4A4FA FF00AA96
	v_subrev_f32_dpp v83, v150, v83 quad_perm:[3,3,3,3] row_mask:0xf bank_mask:0xf// 000000008050: 06A6A6FA FF00FF96
	v_mfma_f32_16x16x16_f16 v[200:203], v[116:117], v[146:147], v[200:203]// 000000008058: D3CD00C8 07232574
	v_mul_f32_e32 v78, v54, v78                                // 000000008060: 0A9C9D36
	v_mul_f32_e32 v79, v55, v79                                // 000000008064: 0A9E9F37
	v_mul_f32_e32 v80, v56, v80                                // 000000008068: 0AA0A138
	v_mfma_f32_16x16x16_f16 v[204:207], v[118:119], v[146:147], v[204:207]// 00000000806C: D3CD00CC 07332576
	v_mul_f32_e32 v81, v57, v81                                // 000000008074: 0AA2A339
	v_mul_f32_e32 v82, v58, v82                                // 000000008078: 0AA4A53A
	v_mul_f32_e32 v83, v59, v83                                // 00000000807C: 0AA6A73B
	v_mfma_f32_16x16x16_f16 v[208:211], v[120:121], v[146:147], v[208:211]// 000000008080: D3CD00D0 07432578
	v_cvt_pkrtz_f16_f32 v75, v78, v79                          // 000000008088: D296004B 00029F4E
	v_cvt_pkrtz_f16_f32 v76, v80, v81                          // 000000008090: D296004C 0002A350
	v_cvt_pkrtz_f16_f32 v77, v82, v83                          // 000000008098: D296004D 0002A752
	v_mfma_f32_16x16x16_f16 v[212:215], v[122:123], v[146:147], v[212:215]// 0000000080A0: D3CD00D4 0753257A
	v_mov_b32_dpp v16, v75 quad_perm:[1,0,3,2] row_mask:0xf bank_mask:0xf// 0000000080A8: 7E2002FA FF00B14B
	v_perm_b32 v51, v16, v75, v15                              // 0000000080B0: D1ED0033 043E9710
	v_mov_b32_dpp v16, v76 quad_perm:[1,0,3,2] row_mask:0xf bank_mask:0xf// 0000000080B8: 7E2002FA FF00B14C
	v_mfma_f32_16x16x16_f16 v[216:219], v[108:109], v[148:149], v[216:219]// 0000000080C0: D3CD00D8 0763296C
	ds_write_b32 v18, v51 offset:20256                         // 0000000080C8: D81A4F20 00003312
	v_mfma_f32_16x16x16_f16 v[220:223], v[110:111], v[148:149], v[220:223]// 0000000080D0: D3CD00DC 0773296E
	v_perm_b32 v52, v16, v76, v15                              // 0000000080D8: D1ED0034 043E9910
	v_mov_b32_dpp v16, v77 quad_perm:[1,0,3,2] row_mask:0xf bank_mask:0xf// 0000000080E0: 7E2002FA FF00B14D
	v_perm_b32 v53, v16, v77, v15                              // 0000000080E8: D1ED0035 043E9B10
	v_mfma_f32_16x16x16_f16 v[224:227], v[112:113], v[148:149], v[224:227]// 0000000080F0: D3CD00E0 07832970
	ds_write_b32 v18, v52 offset:22016                         // 0000000080F8: D81A5600 00003412
	ds_write_b32 v18, v53 offset:22560                         // 000000008100: D81A5820 00003512
	v_mfma_f32_16x16x16_f16 v[228:231], v[114:115], v[148:149], v[228:231]// 000000008108: D3CD00E4 07932972
	v_mfma_f32_16x16x16_f16 v[232:235], v[116:117], v[148:149], v[232:235]// 000000008110: D3CD00E8 07A32974
	ds_write_b32 v13, v84 offset:4352                          // 000000008118: D81A1100 0000540D
	ds_write_b32 v13, v85 offset:5408                          // 000000008120: D81A1520 0000550D
	v_mfma_f32_16x16x16_f16 v[236:239], v[118:119], v[148:149], v[236:239]// 000000008128: D3CD00EC 07B32976
	v_mfma_f32_16x16x16_f16 v[240:243], v[120:121], v[148:149], v[240:243]// 000000008130: D3CD00F0 07C32978
	ds_write_b32 v13, v86 offset:4480                          // 000000008138: D81A1180 0000560D
	ds_write_b32 v13, v87 offset:5536                          // 000000008140: D81A15A0 0000570D
	v_mfma_f32_16x16x16_f16 v[244:247], v[122:123], v[148:149], v[244:247]// 000000008148: D3CD00F4 07D3297A
	s_nop 0                                                    // 000000008150: BF800000
	s_nop 0                                                    // 000000008154: BF800000
	;; [unrolled: 1-line block ×3, first 2 shown]
	s_barrier                                                  // 00000000815C: BF8A0000
	v_mfma_f32_16x16x16_f16 a[160:163], a[144:145], v[72:73], a[160:163]// 000000008160: D3CD80A0 0E829190
	ds_read_b32 v124, v21 offset:51200                         // 000000008168: D86CC800 7C000015
	ds_read_b32 v150, v21 offset:51456                         // 000000008170: D86CC900 96000015
	v_mfma_f32_16x16x16_f16 a[164:167], a[146:147], v[72:73], a[164:167]// 000000008178: D3CD80A4 0E929192
	buffer_atomic_add_f32 v136, v7, s[32:35], 0 offen          // 000000008180: E1341000 80088807
	v_mfma_f32_16x16x16_f16 a[168:171], a[148:149], v[72:73], a[168:171]// 000000008188: D3CD80A8 0EA29194
	s_waitcnt lgkmcnt(6)                                       // 000000008190: BF8CC67F
	s_barrier                                                  // 000000008194: BF8A0000
	v_mfma_f32_16x16x16_f16 a[172:175], a[150:151], v[72:73], a[172:175]// 000000008198: D3CD80AC 0EB29196
	v_mfma_f32_16x16x16_f16 a[176:179], a[152:153], v[72:73], a[176:179]// 0000000081A0: D3CD80B0 0EC29198
	ds_read_b128 v[48:51], v17 offset:17408                    // 0000000081A8: D9FE4400 30000011
	v_mfma_f32_16x16x16_f16 a[180:183], a[154:155], v[72:73], a[180:183]// 0000000081B0: D3CD80B4 0ED2919A
	v_mfma_f32_16x16x16_f16 a[184:187], a[156:157], v[72:73], a[184:187]// 0000000081B8: D3CD80B8 0EE2919C
	ds_read_b128 v[52:55], v17 offset:18560                    // 0000000081C0: D9FE4880 34000011
	v_mfma_f32_16x16x16_f16 a[188:191], a[158:159], v[72:73], a[188:191]// 0000000081C8: D3CD80BC 0EF2919E
	buffer_atomic_add_f32 v137, v8, s[32:35], 0 offen          // 0000000081D0: E1341000 80088908
	v_mfma_f32_16x16x16_f16 a[192:195], a[144:145], v[74:75], a[192:195]// 0000000081D8: D3CD80C0 0F029590
	ds_read_b128 v[56:59], v17 offset:19712                    // 0000000081E0: D9FE4D00 38000011
	v_mfma_f32_16x16x16_f16 a[196:199], a[146:147], v[74:75], a[196:199]// 0000000081E8: D3CD80C4 0F129592
	v_mfma_f32_16x16x16_f16 a[200:203], a[148:149], v[74:75], a[200:203]// 0000000081F0: D3CD80C8 0F229594
	ds_read_b128 v[60:63], v17 offset:20864                    // 0000000081F8: D9FE5180 3C000011
	v_mfma_f32_16x16x16_f16 a[204:207], a[150:151], v[74:75], a[204:207]// 000000008200: D3CD80CC 0F329596
	v_mfma_f32_16x16x16_f16 a[208:211], a[152:153], v[74:75], a[208:211]// 000000008208: D3CD80D0 0F429598
	ds_read_b128 v[64:67], v17 offset:22016                    // 000000008210: D9FE5600 40000011
	v_mfma_f32_16x16x16_f16 a[212:215], a[154:155], v[74:75], a[212:215]// 000000008218: D3CD80D4 0F52959A
	buffer_atomic_add_f32 v138, v7, s[32:35], 0 offen offset:128// 000000008220: E1341080 80088A07
	v_mfma_f32_16x16x16_f16 a[216:219], a[156:157], v[74:75], a[216:219]// 000000008228: D3CD80D8 0F62959C
	ds_read_b128 v[68:71], v17 offset:23168                    // 000000008230: D9FE5A80 44000011
	v_mfma_f32_16x16x16_f16 a[220:223], a[158:159], v[74:75], a[220:223]// 000000008238: D3CD80DC 0F72959E
	v_mfma_f32_16x16x16_f16 a[224:227], a[144:145], v[76:77], a[224:227]// 000000008240: D3CD80E0 0F829990
	ds_write_b32 v13, v88 offset:13056                         // 000000008248: D81A3300 0000580D
	v_mfma_f32_16x16x16_f16 a[228:231], a[146:147], v[76:77], a[228:231]// 000000008250: D3CD80E4 0F929992
	v_mfma_f32_16x16x16_f16 a[232:235], a[148:149], v[76:77], a[232:235]// 000000008258: D3CD80E8 0FA29994
	ds_write_b32 v13, v89 offset:14112                         // 000000008260: D81A3720 0000590D
	v_mfma_f32_16x16x16_f16 a[236:239], a[150:151], v[76:77], a[236:239]// 000000008268: D3CD80EC 0FB29996
	buffer_atomic_add_f32 v139, v8, s[32:35], 0 offen offset:128// 000000008270: E1341080 80088B08
	v_mfma_f32_16x16x16_f16 a[240:243], a[152:153], v[76:77], a[240:243]// 000000008278: D3CD80F0 0FC29998
	ds_write_b32 v13, v90 offset:13184                         // 000000008280: D81A3380 00005A0D
	v_mfma_f32_16x16x16_f16 a[244:247], a[154:155], v[76:77], a[244:247]// 000000008288: D3CD80F4 0FD2999A
	v_mfma_f32_16x16x16_f16 a[248:251], a[156:157], v[76:77], a[248:251]// 000000008290: D3CD80F8 0FE2999C
	ds_write_b32 v13, v91 offset:14240                         // 000000008298: D81A37A0 00005B0D
	v_mfma_f32_16x16x16_f16 a[252:255], a[158:159], v[76:77], a[252:255]// 0000000082A0: D3CD80FC 0FF2999E
	s_waitcnt vmcnt(8) lgkmcnt(4)                              // 0000000082A8: BF8C0478
	s_barrier                                                  // 0000000082AC: BF8A0000
	v_mfma_f32_16x16x16_f16 v[128:131], v[48:49], a[48:49], 0  // 0000000082B0: D3CD0080 12026130
	ds_read_b128 a[144:147], v10                               // 0000000082B8: DBFE0000 9000000A
	v_mov_b32_e32 v36, 0                                       // 0000000082C0: 7E480280
	s_mov_b64 exec, s[76:77]                                   // 0000000082C4: BEFE014C
	buffer_load_dword v36, v1, s[8:11], 0 idxen                // 0000000082C8: E0502000 80022401
	s_mov_b64 exec, s[84:85]                                   // 0000000082D0: BEFE0154
	v_mfma_f32_16x16x16_f16 v[128:131], v[50:51], a[52:53], v[128:131]// 0000000082D4: D3CD0080 16026932
	v_mul_f32_e32 v124, s48, v124                              // 0000000082DC: 0AF8F830
	s_nop 0                                                    // 0000000082E0: BF800000
	v_mfma_f32_16x16x16_f16 v[128:131], v[52:53], a[56:57], v[128:131]// 0000000082E4: D3CD0080 16027134
	ds_read_b128 a[148:151], v10 offset:512                    // 0000000082EC: DBFE0200 9400000A
	v_mov_b32_e32 v37, 0                                       // 0000000082F4: 7E4A0280
	s_mov_b64 exec, s[76:77]                                   // 0000000082F8: BEFE014C
	buffer_load_dword v37, v2, s[8:11], 0 idxen                // 0000000082FC: E0502000 80022502
	s_mov_b64 exec, s[84:85]                                   // 000000008304: BEFE0154
	v_mfma_f32_16x16x16_f16 v[128:131], v[54:55], a[60:61], v[128:131]// 000000008308: D3CD0080 16027936
	v_mfma_f32_16x16x16_f16 v[128:131], v[56:57], a[64:65], v[128:131]// 000000008310: D3CD0080 16028138
	ds_read_b128 a[152:155], v10 offset:2176                   // 000000008318: DBFE0880 9800000A
	v_mov_b32_e32 v38, 0                                       // 000000008320: 7E4C0280
	s_mov_b64 exec, s[76:77]                                   // 000000008324: BEFE014C
	buffer_load_dword v38, v3, s[8:11], 0 idxen                // 000000008328: E0502000 80022603
	s_mov_b64 exec, s[84:85]                                   // 000000008330: BEFE0154
	v_mfma_f32_16x16x16_f16 v[128:131], v[58:59], a[68:69], v[128:131]// 000000008334: D3CD0080 1602893A
	v_perm_b32 v84, v33, v32, s63                              // 00000000833C: D1ED0054 00FE4121
	v_perm_b32 v85, v33, v32, s64                              // 000000008344: D1ED0055 01024121
	v_mfma_f32_16x16x16_f16 v[128:131], v[60:61], a[72:73], v[128:131]// 00000000834C: D3CD0080 1602913C
	ds_read_b128 a[156:159], v10 offset:2688                   // 000000008354: DBFE0A80 9C00000A
	v_mov_b32_e32 v39, 0                                       // 00000000835C: 7E4E0280
	s_mov_b64 exec, s[76:77]                                   // 000000008360: BEFE014C
	buffer_load_dword v39, v4, s[8:11], 0 idxen                // 000000008364: E0502000 80022704
	s_mov_b64 exec, s[84:85]                                   // 00000000836C: BEFE0154
	v_mfma_f32_16x16x16_f16 v[128:131], v[62:63], a[76:77], v[128:131]// 000000008370: D3CD0080 1602993E
	v_perm_b32 v86, v35, v34, s63                              // 000000008378: D1ED0056 00FE4523
	v_perm_b32 v87, v35, v34, s64                              // 000000008380: D1ED0057 01024523
	v_mfma_f32_16x16x16_f16 v[128:131], v[64:65], a[80:81], v[128:131]// 000000008388: D3CD0080 1602A140
	ds_read_b128 v[92:95], v10 offset:8704                     // 000000008390: D9FE2200 5C00000A
	v_mov_b32_e32 v44, 0                                       // 000000008398: 7E580280
	s_mov_b64 exec, s[76:77]                                   // 00000000839C: BEFE014C
	buffer_load_dword v44, v248, s[20:23], 0 idxen             // 0000000083A0: E0502000 80052CF8
	s_mov_b64 exec, s[84:85]                                   // 0000000083A8: BEFE0154
	v_mfma_f32_16x16x16_f16 v[128:131], v[66:67], a[84:85], v[128:131]// 0000000083AC: D3CD0080 1602A942
	v_perm_b32 v88, v41, v40, s63                              // 0000000083B4: D1ED0058 00FE5129
	v_perm_b32 v89, v41, v40, s64                              // 0000000083BC: D1ED0059 01025129
	v_mfma_f32_16x16x16_f16 v[128:131], v[68:69], a[88:89], v[128:131]// 0000000083C4: D3CD0080 1602B144
	ds_read_b128 v[96:99], v10 offset:9216                     // 0000000083CC: D9FE2400 6000000A
	v_mov_b32_e32 v45, 0                                       // 0000000083D4: 7E5A0280
	s_mov_b64 exec, s[76:77]                                   // 0000000083D8: BEFE014C
	buffer_load_dword v45, v249, s[20:23], 0 idxen             // 0000000083DC: E0502000 80052DF9
	s_mov_b64 exec, s[84:85]                                   // 0000000083E4: BEFE0154
	v_mfma_f32_16x16x16_f16 v[128:131], v[70:71], a[92:93], v[128:131]// 0000000083E8: D3CD0080 1602B946
	v_perm_b32 v90, v43, v42, s63                              // 0000000083F0: D1ED005A 00FE552B
	v_perm_b32 v91, v43, v42, s64                              // 0000000083F8: D1ED005B 0102552B
	v_mfma_f32_16x16x16_f16 v[132:135], v[48:49], a[50:51], 0  // 000000008400: D3CD0084 12026530
	ds_read_b128 v[100:103], v10 offset:10880                  // 000000008408: D9FE2A80 6400000A
	v_mov_b32_e32 v46, 0                                       // 000000008410: 7E5C0280
	s_mov_b64 exec, s[76:77]                                   // 000000008414: BEFE014C
	buffer_load_dword v46, v250, s[20:23], 0 idxen             // 000000008418: E0502000 80052EFA
	s_mov_b64 exec, s[84:85]                                   // 000000008420: BEFE0154
	v_mfma_f32_16x16x16_f16 v[132:135], v[50:51], a[54:55], v[132:135]// 000000008424: D3CD0084 16126D32
	v_mov_b32_dpp v127, v124 quad_perm:[3,3,3,3] row_mask:0xf bank_mask:0xf// 00000000842C: 7EFE02FA FF00FF7C
	v_mov_b32_dpp v126, v124 quad_perm:[2,2,2,2] row_mask:0xf bank_mask:0xf// 000000008434: 7EFC02FA FF00AA7C
	v_mfma_f32_16x16x16_f16 v[132:135], v[52:53], a[58:59], v[132:135]// 00000000843C: D3CD0084 16127534
	ds_read_b128 v[104:107], v10 offset:11392                  // 000000008444: D9FE2C80 6800000A
	v_mov_b32_e32 v47, 0                                       // 00000000844C: 7E5E0280
	s_mov_b64 exec, s[76:77]                                   // 000000008450: BEFE014C
	buffer_load_dword v47, v251, s[20:23], 0 idxen             // 000000008454: E0502000 80052FFB
	s_mov_b64 exec, s[84:85]                                   // 00000000845C: BEFE0154
	v_mfma_f32_16x16x16_f16 v[132:135], v[54:55], a[62:63], v[132:135]// 000000008460: D3CD0084 16127D36
	v_mov_b32_dpp v125, v124 quad_perm:[1,1,1,1] row_mask:0xf bank_mask:0xf// 000000008468: 7EFA02FA FF00557C
	v_mov_b32_dpp v124, v124 quad_perm:[0,0,0,0] row_mask:0xf bank_mask:0xf// 000000008470: 7EF802FA FF00007C
	s_add_u32 s60, 64, s59                                     // 000000008478: 803C3BC0
	v_mfma_f32_16x16x16_f16 v[132:135], v[56:57], a[66:67], v[132:135]// 00000000847C: D3CD0084 16128538
	buffer_load_dword v9, s[24:27], 0 idxen lds                // 000000008484: E0512000 80060009
	v_mfma_f32_16x16x16_f16 v[132:135], v[58:59], a[70:71], v[132:135]// 00000000848C: D3CD0084 16128D3A
	s_cmp_lt_u32 s60, s58                                      // 000000008494: BF0A3A3C
	s_cselect_b32 s68, s68, 0                                  // 000000008498: 85448044
	s_cselect_b32 s101, s101, 0                                // 00000000849C: 85658065
	s_cselect_b32 s69, s69, 0                                  // 0000000084A0: 85458045
	v_mfma_f32_16x16x16_f16 v[132:135], v[60:61], a[74:75], v[132:135]// 0000000084A4: D3CD0084 1612953C
	v_add_u32_e32 v1, s68, v1                                  // 0000000084AC: 68020244
	v_add_u32_e32 v2, s68, v2                                  // 0000000084B0: 68040444
	v_add_u32_e32 v3, s68, v3                                  // 0000000084B4: 68060644
	v_add_u32_e32 v4, s68, v4                                  // 0000000084B8: 68080844
	v_mfma_f32_16x16x16_f16 v[132:135], v[62:63], a[78:79], v[132:135]// 0000000084BC: D3CD0084 16129D3E
	v_add_u32_e32 v248, s101, v248                             // 0000000084C4: 69F1F065
	v_add_u32_e32 v249, s101, v249                             // 0000000084C8: 69F3F265
	v_add_u32_e32 v250, s101, v250                             // 0000000084CC: 69F5F465
	v_add_u32_e32 v251, s101, v251                             // 0000000084D0: 69F7F665
	v_mfma_f32_16x16x16_f16 v[132:135], v[64:65], a[82:83], v[132:135]// 0000000084D4: D3CD0084 1612A540
	s_mov_b32 m0, s74                                          // 0000000084DC: BEFC004A
	v_add_u32_e32 v9, s69, v9                                  // 0000000084E0: 68121245
	v_mfma_f32_16x16x16_f16 v[132:135], v[66:67], a[86:87], v[132:135]// 0000000084E4: D3CD0084 1612AD42
	s_cmp_ge_u32 s59, 16                                       // 0000000084EC: BF09903B
	s_cselect_b32 s66, s67, s66                                // 0000000084F0: 85424243
	v_mfma_f32_16x16x16_f16 v[132:135], v[68:69], a[90:91], v[132:135]// 0000000084F4: D3CD0084 1612B544
	s_addk_i32 s59, 0x10                                       // 0000000084FC: B73B0010
	s_nop 0                                                    // 000000008500: BF800000
	s_cmp_lt_i32 s59, s58                                      // 000000008504: BF043A3B
	v_mfma_f32_16x16x16_f16 v[132:135], v[70:71], a[94:95], v[132:135]// 000000008508: D3CD0084 1612BD46
	s_cbranch_scc0 label_0F27                                  // 000000008510: BF84FD58
	s_waitcnt lgkmcnt(0)                                       // 000000008514: BF8CC07F
	s_barrier                                                  // 000000008518: BF8A0000
	v_mfma_f32_16x16x16_f16 v[48:51], a[144:145], a[0:1], 0    // 00000000851C: D3CD0030 1A020190
	v_mul_f32_e32 v128, s47, v128                              // 000000008524: 0B01002F
	v_mul_f32_e32 v129, s47, v129                              // 000000008528: 0B03022F
	v_mfma_f32_16x16x16_f16 v[48:51], a[146:147], a[2:3], v[48:51]// 00000000852C: D3CD0030 1CC20592
	ds_write_b32 v11, v40 offset:8704                          // 000000008534: D81A2200 0000280B
	ds_write_b32 v11, v41 offset:9760                          // 00000000853C: D81A2620 0000290B
	v_mfma_f32_16x16x16_f16 v[48:51], a[148:149], a[4:5], v[48:51]// 000000008544: D3CD0030 1CC20994
	v_mul_f32_e32 v130, s47, v130                              // 00000000854C: 0B05042F
	v_mul_f32_e32 v131, s47, v131                              // 000000008550: 0B07062F
	v_mfma_f32_16x16x16_f16 v[48:51], a[150:151], a[6:7], v[48:51]// 000000008554: D3CD0030 1CC20D96
	ds_write_b32 v11, v42 offset:8832                          // 00000000855C: D81A2280 00002A0B
	ds_write_b32 v11, v43 offset:9888                          // 000000008564: D81A26A0 00002B0B
	v_mfma_f32_16x16x16_f16 v[48:51], a[152:153], a[8:9], v[48:51]// 00000000856C: D3CD0030 1CC21198
	v_mul_f32_e32 v132, s47, v132                              // 000000008574: 0B09082F
	v_mul_f32_e32 v133, s47, v133                              // 000000008578: 0B0B0A2F
	v_mfma_f32_16x16x16_f16 v[48:51], a[154:155], a[10:11], v[48:51]// 00000000857C: D3CD0030 1CC2159A
	ds_write_b64 v20, v[128:129] offset:24320                  // 000000008584: D89A5F00 00008014
	v_mfma_f32_16x16x16_f16 v[48:51], a[156:157], a[12:13], v[48:51]// 00000000858C: D3CD0030 1CC2199C
	v_mul_f32_e32 v134, s47, v134                              // 000000008594: 0B0D0C2F
	v_mul_f32_e32 v135, s47, v135                              // 000000008598: 0B0F0E2F
	v_mfma_f32_16x16x16_f16 v[48:51], a[158:159], a[14:15], v[48:51]// 00000000859C: D3CD0030 1CC21D9E
	ds_write_b64 v20, v[130:131] offset:24832                  // 0000000085A4: D89A6100 00008214
	v_mfma_f32_16x16x16_f16 v[52:55], a[144:145], a[16:17], 0  // 0000000085AC: D3CD0034 1A022190
	buffer_atomic_add_f32 v140, v7, s[32:35], 0 offen offset:256// 0000000085B4: E1341100 80088C07
	v_mfma_f32_16x16x16_f16 v[52:55], a[146:147], a[18:19], v[52:55]// 0000000085BC: D3CD0034 1CD22592
	ds_write_b64 v20, v[132:133] offset:25344                  // 0000000085C4: D89A6300 00008414
	v_mfma_f32_16x16x16_f16 v[52:55], a[148:149], a[20:21], v[52:55]// 0000000085CC: D3CD0034 1CD22994
	v_mfma_f32_16x16x16_f16 v[52:55], a[150:151], a[22:23], v[52:55]// 0000000085D4: D3CD0034 1CD22D96
	ds_write_b64 v20, v[134:135] offset:25856                  // 0000000085DC: D89A6500 00008614
	v_mfma_f32_16x16x16_f16 v[52:55], a[152:153], a[24:25], v[52:55]// 0000000085E4: D3CD0034 1CD23198
	buffer_atomic_add_f32 v141, v8, s[32:35], 0 offen offset:256// 0000000085EC: E1341100 80088D08
	v_mfma_f32_16x16x16_f16 v[52:55], a[154:155], a[26:27], v[52:55]// 0000000085F4: D3CD0034 1CD2359A
	ds_read_b128 v[108:111], v12 offset:13056                  // 0000000085FC: D9FE3300 6C00000C
	ds_write_b32 v11, v32                                      // 000000008604: D81A0000 0000200B
	v_mfma_f32_16x16x16_f16 v[52:55], a[156:157], a[28:29], v[52:55]// 00000000860C: D3CD0034 1CD2399C
	v_mfma_f32_16x16x16_f16 v[52:55], a[158:159], a[30:31], v[52:55]// 000000008614: D3CD0034 1CD23D9E
	v_mfma_f32_16x16x16_f16 v[56:59], a[144:145], a[32:33], 0  // 00000000861C: D3CD0038 1A024190
	ds_read_b128 v[112:115], v12 offset:13568                  // 000000008624: D9FE3500 7000000C
	ds_write_b32 v11, v33 offset:1056                          // 00000000862C: D81A0420 0000210B
	v_mfma_f32_16x16x16_f16 v[56:59], a[146:147], a[34:35], v[56:59]// 000000008634: D3CD0038 1CE24592
	buffer_atomic_add_f32 v142, v7, s[32:35], 0 offen offset:384// 00000000863C: E1341180 80088E07
	v_mfma_f32_16x16x16_f16 v[56:59], a[148:149], a[36:37], v[56:59]// 000000008644: D3CD0038 1CE24994
	v_mfma_f32_16x16x16_f16 v[56:59], a[150:151], a[38:39], v[56:59]// 00000000864C: D3CD0038 1CE24D96
	ds_read_b128 v[116:119], v12 offset:15232                  // 000000008654: D9FE3B80 7400000C
	ds_write_b32 v11, v34 offset:128                           // 00000000865C: D81A0080 0000220B
	v_mfma_f32_16x16x16_f16 v[56:59], a[152:153], a[40:41], v[56:59]// 000000008664: D3CD0038 1CE25198
	v_mfma_f32_16x16x16_f16 v[56:59], a[154:155], a[42:43], v[56:59]// 00000000866C: D3CD0038 1CE2559A
	buffer_atomic_add_f32 v143, v8, s[32:35], 0 offen offset:384// 000000008674: E1341180 80088F08
	v_mfma_f32_16x16x16_f16 v[56:59], a[156:157], a[44:45], v[56:59]// 00000000867C: D3CD0038 1CE2599C
	ds_read_b128 v[120:123], v12 offset:15744                  // 000000008684: D9FE3D80 7800000C
	ds_write_b32 v11, v35 offset:1184                          // 00000000868C: D81A04A0 0000230B
	v_mfma_f32_16x16x16_f16 v[56:59], a[158:159], a[46:47], v[56:59]// 000000008694: D3CD0038 1CE25D9E
	s_cmp_lt_i32 s81, 0xc0                                     // 00000000869C: BF04FF51 000000C0
	s_cbranch_scc0 label_128B                                  // 0000000086A4: BF84004D
	s_cmp_le_i32 s81, 64                                       // 0000000086A8: BF05C051
	s_cbranch_scc1 label_1242                                  // 0000000086AC: BF850007
	s_cmp_le_i32 s81, 0x80                                     // 0000000086B0: BF05FF51 00000080
	s_cbranch_scc1 label_125A                                  // 0000000086B8: BF850017
	s_cmp_lt_i32 s81, 0xc0                                     // 0000000086BC: BF04FF51 000000C0
	s_cbranch_scc1 label_1272                                  // 0000000086C4: BF85002C
	s_branch label_128B                                        // 0000000086C8: BF820044

00000000000086cc <label_1242>:
	s_mov_b32 s60, 0                                           // 0000000086CC: BEBC0080
	v_and_b32_e32 v28, 15, v0                                  // 0000000086D0: 2638008F
	v_add_u32_e64 v28, v28, s60                                // 0000000086D4: D134001C 0000791C
	v_mul_i32_i24_e64 v29, s46, 16                             // 0000000086DC: D106001D 0001202E
	v_add_u32_e32 v28, v28, v29                                // 0000000086E4: 68383B1C
	v_cmp_lt_u32_e64 s[60:61], v28, s81                        // 0000000086E8: D0C9003C 0000A31C
	s_nop 1                                                    // 0000000086F0: BF800001
	v_cndmask_b32_e64 v48, v151, v48, s[60:61]                 // 0000000086F4: D1000030 00F26197
	v_cndmask_b32_e64 v49, v151, v49, s[60:61]                 // 0000000086FC: D1000031 00F26397
	v_cndmask_b32_e64 v50, v151, v50, s[60:61]                 // 000000008704: D1000032 00F26597
	v_cndmask_b32_e64 v51, v151, v51, s[60:61]                 // 00000000870C: D1000033 00F26797
	s_branch label_126D                                        // 000000008714: BF820013

0000000000008718 <label_125A>:
	s_mov_b32 s60, 64                                          // 000000008718: BEBC00C0
	v_and_b32_e32 v28, 15, v0                                  // 00000000871C: 2638008F
	v_add_u32_e64 v28, v28, s60                                // 000000008720: D134001C 0000791C
	v_mul_i32_i24_e64 v29, s46, 16                             // 000000008728: D106001D 0001202E
	v_add_u32_e32 v28, v28, v29                                // 000000008730: 68383B1C
	v_cmp_lt_u32_e64 s[60:61], v28, s81                        // 000000008734: D0C9003C 0000A31C
	s_nop 1                                                    // 00000000873C: BF800001
	v_cndmask_b32_e64 v52, v151, v52, s[60:61]                 // 000000008740: D1000034 00F26997
	v_cndmask_b32_e64 v53, v151, v53, s[60:61]                 // 000000008748: D1000035 00F26B97
	v_cndmask_b32_e64 v54, v151, v54, s[60:61]                 // 000000008750: D1000036 00F26D97
	v_cndmask_b32_e64 v55, v151, v55, s[60:61]                 // 000000008758: D1000037 00F26F97
	s_branch label_1286                                        // 000000008760: BF820019

0000000000008764 <label_126D>:
	v_mov_b32_e32 v52, v151                                    // 000000008764: 7E680397
	v_mov_b32_e32 v53, v151                                    // 000000008768: 7E6A0397
	v_mov_b32_e32 v54, v151                                    // 00000000876C: 7E6C0397
	v_mov_b32_e32 v55, v151                                    // 000000008770: 7E6E0397
	s_branch label_1286                                        // 000000008774: BF820014

0000000000008778 <label_1272>:
	s_mov_b32 s60, 0x80                                        // 000000008778: BEBC00FF 00000080
	v_and_b32_e32 v28, 15, v0                                  // 000000008780: 2638008F
	v_add_u32_e64 v28, v28, s60                                // 000000008784: D134001C 0000791C
	v_mul_i32_i24_e64 v29, s46, 16                             // 00000000878C: D106001D 0001202E
	v_add_u32_e32 v28, v28, v29                                // 000000008794: 68383B1C
	v_cmp_lt_u32_e64 s[60:61], v28, s81                        // 000000008798: D0C9003C 0000A31C
	s_nop 1                                                    // 0000000087A0: BF800001
	v_cndmask_b32_e64 v56, v151, v56, s[60:61]                 // 0000000087A4: D1000038 00F27197
	v_cndmask_b32_e64 v57, v151, v57, s[60:61]                 // 0000000087AC: D1000039 00F27397
	v_cndmask_b32_e64 v58, v151, v58, s[60:61]                 // 0000000087B4: D100003A 00F27597
	v_cndmask_b32_e64 v59, v151, v59, s[60:61]                 // 0000000087BC: D100003B 00F27797
	s_branch label_128B                                        // 0000000087C4: BF820005

00000000000087c8 <label_1286>:
	v_mov_b32_e32 v56, v151                                    // 0000000087C8: 7E700397
	v_mov_b32_e32 v57, v151                                    // 0000000087CC: 7E720397
	v_mov_b32_e32 v58, v151                                    // 0000000087D0: 7E740397
	v_mov_b32_e32 v59, v151                                    // 0000000087D4: 7E760397
	s_branch label_128B                                        // 0000000087D8: BF820000

00000000000087dc <label_128B>:
	s_waitcnt lgkmcnt(8)                                       // 0000000087DC: BF8CC87F
	s_barrier                                                  // 0000000087E0: BF8A0000
	v_mfma_f32_16x16x16_f16 v[72:75], v[92:93], a[96:97], 0    // 0000000087E4: D3CD0048 1202C15C
	v_fma_f32 v48, v48, s57, -v124                             // 0000000087EC: D1CB0030 85F07330
	v_fma_f32 v49, v49, s57, -v125                             // 0000000087F4: D1CB0031 85F47331
	v_fma_f32 v50, v50, s57, -v126                             // 0000000087FC: D1CB0032 85F87332
	v_mfma_f32_16x16x16_f16 v[72:75], v[94:95], a[98:99], v[72:75]// 000000008804: D3CD0048 1522C55E
	ds_read_b128 a[144:147], v12 offset:4352                   // 00000000880C: DBFE1100 9000000C
	ds_read_b128 a[148:151], v12 offset:4864                   // 000000008814: DBFE1300 9400000C
	v_mfma_f32_16x16x16_f16 v[72:75], v[96:97], a[100:101], v[72:75]// 00000000881C: D3CD0048 1522C960
	v_fma_f32 v51, v51, s57, -v127                             // 000000008824: D1CB0033 85FC7333
	v_fma_f32 v52, v52, s57, -v124                             // 00000000882C: D1CB0034 85F07334
	v_fma_f32 v53, v53, s57, -v125                             // 000000008834: D1CB0035 85F47335
	v_mfma_f32_16x16x16_f16 v[72:75], v[98:99], a[102:103], v[72:75]// 00000000883C: D3CD0048 1522CD62
	v_fma_f32 v54, v54, s57, -v126                             // 000000008844: D1CB0036 85F87336
	v_fma_f32 v55, v55, s57, -v127                             // 00000000884C: D1CB0037 85FC7337
	v_fma_f32 v56, v56, s57, -v124                             // 000000008854: D1CB0038 85F07338
	v_mfma_f32_16x16x16_f16 v[72:75], v[100:101], a[104:105], v[72:75]// 00000000885C: D3CD0048 1522D164
	v_fma_f32 v57, v57, s57, -v125                             // 000000008864: D1CB0039 85F47339
	v_fma_f32 v58, v58, s57, -v126                             // 00000000886C: D1CB003A 85F8733A
	v_fma_f32 v59, v59, s57, -v127                             // 000000008874: D1CB003B 85FC733B
	v_mfma_f32_16x16x16_f16 v[72:75], v[102:103], a[106:107], v[72:75]// 00000000887C: D3CD0048 1522D566
	ds_read_b128 a[152:155], v12 offset:6528                   // 000000008884: DBFE1980 9800000C
	ds_read_b128 a[156:159], v12 offset:7040                   // 00000000888C: DBFE1B80 9C00000C
	v_mfma_f32_16x16x16_f16 v[72:75], v[104:105], a[108:109], v[72:75]// 000000008894: D3CD0048 1522D968
	v_exp_f32_e32 v48, v48                                     // 00000000889C: 7E604130
	v_mfma_f32_16x16x16_f16 v[72:75], v[106:107], a[110:111], v[72:75]// 0000000088A0: D3CD0048 1522DD6A
	v_exp_f32_e32 v49, v49                                     // 0000000088A8: 7E624131
	v_mfma_f32_16x16x16_f16 v[76:79], v[92:93], a[112:113], 0  // 0000000088AC: D3CD004C 1202E15C
	v_exp_f32_e32 v50, v50                                     // 0000000088B4: 7E644132
	v_mfma_f32_16x16x16_f16 v[76:79], v[94:95], a[114:115], v[76:79]// 0000000088B8: D3CD004C 1532E55E
	ds_read_b64 v[136:137], v19 offset:24320                   // 0000000088C0: D8EC5F00 88000013
	ds_read_b64 v[138:139], v19 offset:26368                   // 0000000088C8: D8EC6700 8A000013
	v_mfma_f32_16x16x16_f16 v[76:79], v[96:97], a[116:117], v[76:79]// 0000000088D0: D3CD004C 1532E960
	v_exp_f32_e32 v51, v51                                     // 0000000088D8: 7E664133
	v_mfma_f32_16x16x16_f16 v[76:79], v[98:99], a[118:119], v[76:79]// 0000000088DC: D3CD004C 1532ED62
	ds_read_b64 v[140:141], v19 offset:28416                   // 0000000088E4: D8EC6F00 8C000013
	ds_read_b64 v[142:143], v19 offset:30464                   // 0000000088EC: D8EC7700 8E000013
	v_mfma_f32_16x16x16_f16 v[76:79], v[100:101], a[120:121], v[76:79]// 0000000088F4: D3CD004C 1532F164
	v_exp_f32_e32 v52, v52                                     // 0000000088FC: 7E684134
	v_mfma_f32_16x16x16_f16 v[76:79], v[102:103], a[122:123], v[76:79]// 000000008900: D3CD004C 1532F566
	v_exp_f32_e32 v53, v53                                     // 000000008908: 7E6A4135
	v_mfma_f32_16x16x16_f16 v[76:79], v[104:105], a[124:125], v[76:79]// 00000000890C: D3CD004C 1532F968
	v_exp_f32_e32 v54, v54                                     // 000000008914: 7E6C4136
	v_mfma_f32_16x16x16_f16 v[76:79], v[106:107], a[126:127], v[76:79]// 000000008918: D3CD004C 1532FD6A
	v_exp_f32_e32 v55, v55                                     // 000000008920: 7E6E4137
	v_mfma_f32_16x16x16_f16 v[80:83], v[92:93], a[128:129], 0  // 000000008924: D3CD0050 1203015C
	v_exp_f32_e32 v56, v56                                     // 00000000892C: 7E704138
	v_mfma_f32_16x16x16_f16 v[80:83], v[94:95], a[130:131], v[80:83]// 000000008930: D3CD0050 1543055E
	v_exp_f32_e32 v57, v57                                     // 000000008938: 7E724139
	v_mfma_f32_16x16x16_f16 v[80:83], v[96:97], a[132:133], v[80:83]// 00000000893C: D3CD0050 15430960
	v_exp_f32_e32 v58, v58                                     // 000000008944: 7E74413A
	v_mfma_f32_16x16x16_f16 v[80:83], v[98:99], a[134:135], v[80:83]// 000000008948: D3CD0050 15430D62
	v_exp_f32_e32 v59, v59                                     // 000000008950: 7E76413B
	v_mfma_f32_16x16x16_f16 v[80:83], v[100:101], a[136:137], v[80:83]// 000000008954: D3CD0050 15431164
	v_cvt_pkrtz_f16_f32 v144, v48, v49                         // 00000000895C: D2960090 00026330
	v_cvt_pkrtz_f16_f32 v145, v50, v51                         // 000000008964: D2960091 00026732
	v_cvt_pkrtz_f16_f32 v146, v52, v53                         // 00000000896C: D2960092 00026B34
	v_mfma_f32_16x16x16_f16 v[80:83], v[102:103], a[138:139], v[80:83]// 000000008974: D3CD0050 15431566
	v_cvt_pkrtz_f16_f32 v147, v54, v55                         // 00000000897C: D2960093 00026F36
	v_cvt_pkrtz_f16_f32 v148, v56, v57                         // 000000008984: D2960094 00027338
	v_cvt_pkrtz_f16_f32 v149, v58, v59                         // 00000000898C: D2960095 0002773A
	v_mfma_f32_16x16x16_f16 v[80:83], v[104:105], a[140:141], v[80:83]// 000000008994: D3CD0050 15431968
	v_add_u32_e32 v7, s66, v7                                  // 00000000899C: 680E0E42
	v_add_u32_e32 v8, s66, v8                                  // 0000000089A0: 68101042
	v_mfma_f32_16x16x16_f16 v[80:83], v[106:107], a[142:143], v[80:83]// 0000000089A4: D3CD0050 15431D6A
	s_waitcnt lgkmcnt(0)                                       // 0000000089AC: BF8CC07F
	s_barrier                                                  // 0000000089B0: BF8A0000
	v_mfma_f32_16x16x16_f16 v[152:155], v[108:109], v[144:145], v[152:155]// 0000000089B4: D3CD0098 0663216C
	v_subrev_f32_dpp v72, v150, v72 quad_perm:[0,0,0,0] row_mask:0xf bank_mask:0xf// 0000000089BC: 069090FA FF000096
	v_subrev_f32_dpp v73, v150, v73 quad_perm:[1,1,1,1] row_mask:0xf bank_mask:0xf// 0000000089C4: 069292FA FF005596
	v_subrev_f32_dpp v74, v150, v74 quad_perm:[2,2,2,2] row_mask:0xf bank_mask:0xf// 0000000089CC: 069494FA FF00AA96
	v_mfma_f32_16x16x16_f16 v[156:159], v[110:111], v[144:145], v[156:159]// 0000000089D4: D3CD009C 0673216E
	v_subrev_f32_dpp v75, v150, v75 quad_perm:[3,3,3,3] row_mask:0xf bank_mask:0xf// 0000000089DC: 069696FA FF00FF96
	v_subrev_f32_dpp v76, v150, v76 quad_perm:[0,0,0,0] row_mask:0xf bank_mask:0xf// 0000000089E4: 069898FA FF000096
	v_subrev_f32_dpp v77, v150, v77 quad_perm:[1,1,1,1] row_mask:0xf bank_mask:0xf// 0000000089EC: 069A9AFA FF005596
	v_mfma_f32_16x16x16_f16 v[160:163], v[112:113], v[144:145], v[160:163]// 0000000089F4: D3CD00A0 06832170
	v_mul_f32_e32 v72, v48, v72                                // 0000000089FC: 0A909130
	v_mul_f32_e32 v73, v49, v73                                // 000000008A00: 0A929331
	v_mul_f32_e32 v74, v50, v74                                // 000000008A04: 0A949532
	v_mfma_f32_16x16x16_f16 v[164:167], v[114:115], v[144:145], v[164:167]// 000000008A08: D3CD00A4 06932172
	v_mul_f32_e32 v75, v51, v75                                // 000000008A10: 0A969733
	v_mul_f32_e32 v76, v52, v76                                // 000000008A14: 0A989934
	v_mul_f32_e32 v77, v53, v77                                // 000000008A18: 0A9A9B35
	v_mfma_f32_16x16x16_f16 v[168:171], v[116:117], v[144:145], v[168:171]// 000000008A1C: D3CD00A8 06A32174
	v_cvt_pkrtz_f16_f32 v72, v72, v73                          // 000000008A24: D2960048 00029348
	v_cvt_pkrtz_f16_f32 v73, v74, v75                          // 000000008A2C: D2960049 0002974A
	v_cvt_pkrtz_f16_f32 v74, v76, v77                          // 000000008A34: D296004A 00029B4C
	v_mfma_f32_16x16x16_f16 v[172:175], v[118:119], v[144:145], v[172:175]// 000000008A3C: D3CD00AC 06B32176
	v_mov_b32_dpp v16, v72 quad_perm:[1,0,3,2] row_mask:0xf bank_mask:0xf// 000000008A44: 7E2002FA FF00B148
	v_perm_b32 v48, v16, v72, v15                              // 000000008A4C: D1ED0030 043E9110
	v_mov_b32_dpp v16, v73 quad_perm:[1,0,3,2] row_mask:0xf bank_mask:0xf// 000000008A54: 7E2002FA FF00B149
	v_mfma_f32_16x16x16_f16 v[176:179], v[120:121], v[144:145], v[176:179]// 000000008A5C: D3CD00B0 06C32178
	ds_write_b32 v18, v48 offset:17408                         // 000000008A64: D81A4400 00003012
	v_mfma_f32_16x16x16_f16 v[180:183], v[122:123], v[144:145], v[180:183]// 000000008A6C: D3CD00B4 06D3217A
	v_perm_b32 v49, v16, v73, v15                              // 000000008A74: D1ED0031 043E9310
	v_mov_b32_dpp v16, v74 quad_perm:[1,0,3,2] row_mask:0xf bank_mask:0xf// 000000008A7C: 7E2002FA FF00B14A
	v_perm_b32 v50, v16, v74, v15                              // 000000008A84: D1ED0032 043E9510
	v_mfma_f32_16x16x16_f16 v[184:187], v[108:109], v[146:147], v[184:187]// 000000008A8C: D3CD00B8 06E3256C
	ds_write_b32 v18, v49 offset:17952                         // 000000008A94: D81A4620 00003112
	v_mfma_f32_16x16x16_f16 v[188:191], v[110:111], v[146:147], v[188:191]// 000000008A9C: D3CD00BC 06F3256E
	v_subrev_f32_dpp v78, v150, v78 quad_perm:[2,2,2,2] row_mask:0xf bank_mask:0xf// 000000008AA4: 069C9CFA FF00AA96
	v_subrev_f32_dpp v79, v150, v79 quad_perm:[3,3,3,3] row_mask:0xf bank_mask:0xf// 000000008AAC: 069E9EFA FF00FF96
	v_subrev_f32_dpp v80, v150, v80 quad_perm:[0,0,0,0] row_mask:0xf bank_mask:0xf// 000000008AB4: 06A0A0FA FF000096
	v_mfma_f32_16x16x16_f16 v[192:195], v[112:113], v[146:147], v[192:195]// 000000008ABC: D3CD00C0 07032570
	ds_write_b32 v18, v50 offset:19712                         // 000000008AC4: D81A4D00 00003212
	v_mfma_f32_16x16x16_f16 v[196:199], v[114:115], v[146:147], v[196:199]// 000000008ACC: D3CD00C4 07132572
	v_subrev_f32_dpp v81, v150, v81 quad_perm:[1,1,1,1] row_mask:0xf bank_mask:0xf// 000000008AD4: 06A2A2FA FF005596
	v_subrev_f32_dpp v82, v150, v82 quad_perm:[2,2,2,2] row_mask:0xf bank_mask:0xf// 000000008ADC: 06A4A4FA FF00AA96
	v_subrev_f32_dpp v83, v150, v83 quad_perm:[3,3,3,3] row_mask:0xf bank_mask:0xf// 000000008AE4: 06A6A6FA FF00FF96
	v_mfma_f32_16x16x16_f16 v[200:203], v[116:117], v[146:147], v[200:203]// 000000008AEC: D3CD00C8 07232574
	v_mul_f32_e32 v78, v54, v78                                // 000000008AF4: 0A9C9D36
	v_mul_f32_e32 v79, v55, v79                                // 000000008AF8: 0A9E9F37
	v_mul_f32_e32 v80, v56, v80                                // 000000008AFC: 0AA0A138
	v_mfma_f32_16x16x16_f16 v[204:207], v[118:119], v[146:147], v[204:207]// 000000008B00: D3CD00CC 07332576
	v_mul_f32_e32 v81, v57, v81                                // 000000008B08: 0AA2A339
	v_mul_f32_e32 v82, v58, v82                                // 000000008B0C: 0AA4A53A
	v_mul_f32_e32 v83, v59, v83                                // 000000008B10: 0AA6A73B
	v_mfma_f32_16x16x16_f16 v[208:211], v[120:121], v[146:147], v[208:211]// 000000008B14: D3CD00D0 07432578
	v_cvt_pkrtz_f16_f32 v75, v78, v79                          // 000000008B1C: D296004B 00029F4E
	v_cvt_pkrtz_f16_f32 v76, v80, v81                          // 000000008B24: D296004C 0002A350
	v_cvt_pkrtz_f16_f32 v77, v82, v83                          // 000000008B2C: D296004D 0002A752
	v_mfma_f32_16x16x16_f16 v[212:215], v[122:123], v[146:147], v[212:215]// 000000008B34: D3CD00D4 0753257A
	v_mov_b32_dpp v16, v75 quad_perm:[1,0,3,2] row_mask:0xf bank_mask:0xf// 000000008B3C: 7E2002FA FF00B14B
	v_perm_b32 v51, v16, v75, v15                              // 000000008B44: D1ED0033 043E9710
	v_mov_b32_dpp v16, v76 quad_perm:[1,0,3,2] row_mask:0xf bank_mask:0xf// 000000008B4C: 7E2002FA FF00B14C
	v_mfma_f32_16x16x16_f16 v[216:219], v[108:109], v[148:149], v[216:219]// 000000008B54: D3CD00D8 0763296C
	ds_write_b32 v18, v51 offset:20256                         // 000000008B5C: D81A4F20 00003312
	v_mfma_f32_16x16x16_f16 v[220:223], v[110:111], v[148:149], v[220:223]// 000000008B64: D3CD00DC 0773296E
	v_perm_b32 v52, v16, v76, v15                              // 000000008B6C: D1ED0034 043E9910
	v_mov_b32_dpp v16, v77 quad_perm:[1,0,3,2] row_mask:0xf bank_mask:0xf// 000000008B74: 7E2002FA FF00B14D
	v_perm_b32 v53, v16, v77, v15                              // 000000008B7C: D1ED0035 043E9B10
	v_mfma_f32_16x16x16_f16 v[224:227], v[112:113], v[148:149], v[224:227]// 000000008B84: D3CD00E0 07832970
	ds_write_b32 v18, v52 offset:22016                         // 000000008B8C: D81A5600 00003412
	ds_write_b32 v18, v53 offset:22560                         // 000000008B94: D81A5820 00003512
	v_mfma_f32_16x16x16_f16 v[228:231], v[114:115], v[148:149], v[228:231]// 000000008B9C: D3CD00E4 07932972
	v_mfma_f32_16x16x16_f16 v[232:235], v[116:117], v[148:149], v[232:235]// 000000008BA4: D3CD00E8 07A32974
	ds_write_b32 v13, v84 offset:4352                          // 000000008BAC: D81A1100 0000540D
	ds_write_b32 v13, v85 offset:5408                          // 000000008BB4: D81A1520 0000550D
	v_mfma_f32_16x16x16_f16 v[236:239], v[118:119], v[148:149], v[236:239]// 000000008BBC: D3CD00EC 07B32976
	v_mfma_f32_16x16x16_f16 v[240:243], v[120:121], v[148:149], v[240:243]// 000000008BC4: D3CD00F0 07C32978
	ds_write_b32 v13, v86 offset:4480                          // 000000008BCC: D81A1180 0000560D
	ds_write_b32 v13, v87 offset:5536                          // 000000008BD4: D81A15A0 0000570D
	v_mfma_f32_16x16x16_f16 v[244:247], v[122:123], v[148:149], v[244:247]// 000000008BDC: D3CD00F4 07D3297A
	s_nop 0                                                    // 000000008BE4: BF800000
	s_nop 0                                                    // 000000008BE8: BF800000
	s_nop 0                                                    // 000000008BEC: BF800000
	s_barrier                                                  // 000000008BF0: BF8A0000
	v_mfma_f32_16x16x16_f16 a[160:163], a[144:145], v[72:73], a[160:163]// 000000008BF4: D3CD80A0 0E829190
	ds_read_b32 v124, v21 offset:50688                         // 000000008BFC: D86CC600 7C000015
	ds_read_b32 v150, v21 offset:50944                         // 000000008C04: D86CC700 96000015
	v_mfma_f32_16x16x16_f16 a[164:167], a[146:147], v[72:73], a[164:167]// 000000008C0C: D3CD80A4 0E929192
	buffer_atomic_add_f32 v136, v7, s[32:35], 0 offen          // 000000008C14: E1341000 80088807
	v_mfma_f32_16x16x16_f16 a[168:171], a[148:149], v[72:73], a[168:171]// 000000008C1C: D3CD80A8 0EA29194
	s_waitcnt lgkmcnt(6)                                       // 000000008C24: BF8CC67F
	s_barrier                                                  // 000000008C28: BF8A0000
	v_mfma_f32_16x16x16_f16 a[172:175], a[150:151], v[72:73], a[172:175]// 000000008C2C: D3CD80AC 0EB29196
	v_mfma_f32_16x16x16_f16 a[176:179], a[152:153], v[72:73], a[176:179]// 000000008C34: D3CD80B0 0EC29198
	ds_read_b128 v[48:51], v17 offset:17408                    // 000000008C3C: D9FE4400 30000011
	v_mfma_f32_16x16x16_f16 a[180:183], a[154:155], v[72:73], a[180:183]// 000000008C44: D3CD80B4 0ED2919A
	v_mfma_f32_16x16x16_f16 a[184:187], a[156:157], v[72:73], a[184:187]// 000000008C4C: D3CD80B8 0EE2919C
	ds_read_b128 v[52:55], v17 offset:18560                    // 000000008C54: D9FE4880 34000011
	v_mfma_f32_16x16x16_f16 a[188:191], a[158:159], v[72:73], a[188:191]// 000000008C5C: D3CD80BC 0EF2919E
	buffer_atomic_add_f32 v137, v8, s[32:35], 0 offen          // 000000008C64: E1341000 80088908
	v_mfma_f32_16x16x16_f16 a[192:195], a[144:145], v[74:75], a[192:195]// 000000008C6C: D3CD80C0 0F029590
	ds_read_b128 v[56:59], v17 offset:19712                    // 000000008C74: D9FE4D00 38000011
	v_mfma_f32_16x16x16_f16 a[196:199], a[146:147], v[74:75], a[196:199]// 000000008C7C: D3CD80C4 0F129592
	v_mfma_f32_16x16x16_f16 a[200:203], a[148:149], v[74:75], a[200:203]// 000000008C84: D3CD80C8 0F229594
	ds_read_b128 v[60:63], v17 offset:20864                    // 000000008C8C: D9FE5180 3C000011
	v_mfma_f32_16x16x16_f16 a[204:207], a[150:151], v[74:75], a[204:207]// 000000008C94: D3CD80CC 0F329596
	v_mfma_f32_16x16x16_f16 a[208:211], a[152:153], v[74:75], a[208:211]// 000000008C9C: D3CD80D0 0F429598
	ds_read_b128 v[64:67], v17 offset:22016                    // 000000008CA4: D9FE5600 40000011
	v_mfma_f32_16x16x16_f16 a[212:215], a[154:155], v[74:75], a[212:215]// 000000008CAC: D3CD80D4 0F52959A
	buffer_atomic_add_f32 v138, v7, s[32:35], 0 offen offset:128// 000000008CB4: E1341080 80088A07
	v_mfma_f32_16x16x16_f16 a[216:219], a[156:157], v[74:75], a[216:219]// 000000008CBC: D3CD80D8 0F62959C
	ds_read_b128 v[68:71], v17 offset:23168                    // 000000008CC4: D9FE5A80 44000011
	v_mfma_f32_16x16x16_f16 a[220:223], a[158:159], v[74:75], a[220:223]// 000000008CCC: D3CD80DC 0F72959E
	v_mfma_f32_16x16x16_f16 a[224:227], a[144:145], v[76:77], a[224:227]// 000000008CD4: D3CD80E0 0F829990
	ds_write_b32 v13, v88 offset:13056                         // 000000008CDC: D81A3300 0000580D
	v_mfma_f32_16x16x16_f16 a[228:231], a[146:147], v[76:77], a[228:231]// 000000008CE4: D3CD80E4 0F929992
	v_mfma_f32_16x16x16_f16 a[232:235], a[148:149], v[76:77], a[232:235]// 000000008CEC: D3CD80E8 0FA29994
	ds_write_b32 v13, v89 offset:14112                         // 000000008CF4: D81A3720 0000590D
	v_mfma_f32_16x16x16_f16 a[236:239], a[150:151], v[76:77], a[236:239]// 000000008CFC: D3CD80EC 0FB29996
	buffer_atomic_add_f32 v139, v8, s[32:35], 0 offen offset:128// 000000008D04: E1341080 80088B08
	v_mfma_f32_16x16x16_f16 a[240:243], a[152:153], v[76:77], a[240:243]// 000000008D0C: D3CD80F0 0FC29998
	ds_write_b32 v13, v90 offset:13184                         // 000000008D14: D81A3380 00005A0D
	v_mfma_f32_16x16x16_f16 a[244:247], a[154:155], v[76:77], a[244:247]// 000000008D1C: D3CD80F4 0FD2999A
	v_mfma_f32_16x16x16_f16 a[248:251], a[156:157], v[76:77], a[248:251]// 000000008D24: D3CD80F8 0FE2999C
	ds_write_b32 v13, v91 offset:14240                         // 000000008D2C: D81A37A0 00005B0D
	v_mfma_f32_16x16x16_f16 a[252:255], a[158:159], v[76:77], a[252:255]// 000000008D34: D3CD80FC 0FF2999E
	s_waitcnt vmcnt(8) lgkmcnt(4)                              // 000000008D3C: BF8C0478
	s_barrier                                                  // 000000008D40: BF8A0000
	v_mfma_f32_16x16x16_f16 v[128:131], v[48:49], a[48:49], 0  // 000000008D44: D3CD0080 12026130
	ds_read_b128 a[144:147], v10                               // 000000008D4C: DBFE0000 9000000A
	v_mov_b32_e32 v32, 0                                       // 000000008D54: 7E400280
	s_mov_b64 exec, s[76:77]                                   // 000000008D58: BEFE014C
	buffer_load_dword v32, v1, s[8:11], 0 idxen                // 000000008D5C: E0502000 80022001
	s_mov_b64 exec, s[84:85]                                   // 000000008D64: BEFE0154
	v_mfma_f32_16x16x16_f16 v[128:131], v[50:51], a[52:53], v[128:131]// 000000008D68: D3CD0080 16026932
	v_mul_f32_e32 v124, s48, v124                              // 000000008D70: 0AF8F830
	s_nop 0                                                    // 000000008D74: BF800000
	v_mfma_f32_16x16x16_f16 v[128:131], v[52:53], a[56:57], v[128:131]// 000000008D78: D3CD0080 16027134
	ds_read_b128 a[148:151], v10 offset:512                    // 000000008D80: DBFE0200 9400000A
	v_mov_b32_e32 v33, 0                                       // 000000008D88: 7E420280
	s_mov_b64 exec, s[76:77]                                   // 000000008D8C: BEFE014C
	buffer_load_dword v33, v2, s[8:11], 0 idxen                // 000000008D90: E0502000 80022102
	s_mov_b64 exec, s[84:85]                                   // 000000008D98: BEFE0154
	v_mfma_f32_16x16x16_f16 v[128:131], v[54:55], a[60:61], v[128:131]// 000000008D9C: D3CD0080 16027936
	v_mfma_f32_16x16x16_f16 v[128:131], v[56:57], a[64:65], v[128:131]// 000000008DA4: D3CD0080 16028138
	ds_read_b128 a[152:155], v10 offset:2176                   // 000000008DAC: DBFE0880 9800000A
	v_mov_b32_e32 v34, 0                                       // 000000008DB4: 7E440280
	s_mov_b64 exec, s[76:77]                                   // 000000008DB8: BEFE014C
	buffer_load_dword v34, v3, s[8:11], 0 idxen                // 000000008DBC: E0502000 80022203
	s_mov_b64 exec, s[84:85]                                   // 000000008DC4: BEFE0154
	v_mfma_f32_16x16x16_f16 v[128:131], v[58:59], a[68:69], v[128:131]// 000000008DC8: D3CD0080 1602893A
	v_perm_b32 v84, v37, v36, s63                              // 000000008DD0: D1ED0054 00FE4925
	v_perm_b32 v85, v37, v36, s64                              // 000000008DD8: D1ED0055 01024925
	v_mfma_f32_16x16x16_f16 v[128:131], v[60:61], a[72:73], v[128:131]// 000000008DE0: D3CD0080 1602913C
	ds_read_b128 a[156:159], v10 offset:2688                   // 000000008DE8: DBFE0A80 9C00000A
	v_mov_b32_e32 v35, 0                                       // 000000008DF0: 7E460280
	s_mov_b64 exec, s[76:77]                                   // 000000008DF4: BEFE014C
	buffer_load_dword v35, v4, s[8:11], 0 idxen                // 000000008DF8: E0502000 80022304
	s_mov_b64 exec, s[84:85]                                   // 000000008E00: BEFE0154
	v_mfma_f32_16x16x16_f16 v[128:131], v[62:63], a[76:77], v[128:131]// 000000008E04: D3CD0080 1602993E
	v_perm_b32 v86, v39, v38, s63                              // 000000008E0C: D1ED0056 00FE4D27
	v_perm_b32 v87, v39, v38, s64                              // 000000008E14: D1ED0057 01024D27
	v_mfma_f32_16x16x16_f16 v[128:131], v[64:65], a[80:81], v[128:131]// 000000008E1C: D3CD0080 1602A140
	ds_read_b128 v[92:95], v10 offset:8704                     // 000000008E24: D9FE2200 5C00000A
	v_mov_b32_e32 v40, 0                                       // 000000008E2C: 7E500280
	s_mov_b64 exec, s[76:77]                                   // 000000008E30: BEFE014C
	buffer_load_dword v40, v248, s[20:23], 0 idxen             // 000000008E34: E0502000 800528F8
	s_mov_b64 exec, s[84:85]                                   // 000000008E3C: BEFE0154
	v_mfma_f32_16x16x16_f16 v[128:131], v[66:67], a[84:85], v[128:131]// 000000008E40: D3CD0080 1602A942
	v_perm_b32 v88, v45, v44, s63                              // 000000008E48: D1ED0058 00FE592D
	v_perm_b32 v89, v45, v44, s64                              // 000000008E50: D1ED0059 0102592D
	v_mfma_f32_16x16x16_f16 v[128:131], v[68:69], a[88:89], v[128:131]// 000000008E58: D3CD0080 1602B144
	ds_read_b128 v[96:99], v10 offset:9216                     // 000000008E60: D9FE2400 6000000A
	v_mov_b32_e32 v41, 0                                       // 000000008E68: 7E520280
	s_mov_b64 exec, s[76:77]                                   // 000000008E6C: BEFE014C
	buffer_load_dword v41, v249, s[20:23], 0 idxen             // 000000008E70: E0502000 800529F9
	s_mov_b64 exec, s[84:85]                                   // 000000008E78: BEFE0154
	v_mfma_f32_16x16x16_f16 v[128:131], v[70:71], a[92:93], v[128:131]// 000000008E7C: D3CD0080 1602B946
	v_perm_b32 v90, v47, v46, s63                              // 000000008E84: D1ED005A 00FE5D2F
	v_perm_b32 v91, v47, v46, s64                              // 000000008E8C: D1ED005B 01025D2F
	v_mfma_f32_16x16x16_f16 v[132:135], v[48:49], a[50:51], 0  // 000000008E94: D3CD0084 12026530
	ds_read_b128 v[100:103], v10 offset:10880                  // 000000008E9C: D9FE2A80 6400000A
	v_mov_b32_e32 v42, 0                                       // 000000008EA4: 7E540280
	s_mov_b64 exec, s[76:77]                                   // 000000008EA8: BEFE014C
	buffer_load_dword v42, v250, s[20:23], 0 idxen             // 000000008EAC: E0502000 80052AFA
	s_mov_b64 exec, s[84:85]                                   // 000000008EB4: BEFE0154
	v_mfma_f32_16x16x16_f16 v[132:135], v[50:51], a[54:55], v[132:135]// 000000008EB8: D3CD0084 16126D32
	v_mov_b32_dpp v127, v124 quad_perm:[3,3,3,3] row_mask:0xf bank_mask:0xf// 000000008EC0: 7EFE02FA FF00FF7C
	v_mov_b32_dpp v126, v124 quad_perm:[2,2,2,2] row_mask:0xf bank_mask:0xf// 000000008EC8: 7EFC02FA FF00AA7C
	v_mfma_f32_16x16x16_f16 v[132:135], v[52:53], a[58:59], v[132:135]// 000000008ED0: D3CD0084 16127534
	ds_read_b128 v[104:107], v10 offset:11392                  // 000000008ED8: D9FE2C80 6800000A
	v_mov_b32_e32 v43, 0                                       // 000000008EE0: 7E560280
	s_mov_b64 exec, s[76:77]                                   // 000000008EE4: BEFE014C
	buffer_load_dword v43, v251, s[20:23], 0 idxen             // 000000008EE8: E0502000 80052BFB
	s_mov_b64 exec, s[84:85]                                   // 000000008EF0: BEFE0154
	v_mfma_f32_16x16x16_f16 v[132:135], v[54:55], a[62:63], v[132:135]// 000000008EF4: D3CD0084 16127D36
	v_mov_b32_dpp v125, v124 quad_perm:[1,1,1,1] row_mask:0xf bank_mask:0xf// 000000008EFC: 7EFA02FA FF00557C
	v_mov_b32_dpp v124, v124 quad_perm:[0,0,0,0] row_mask:0xf bank_mask:0xf// 000000008F04: 7EF802FA FF00007C
	s_add_u32 s60, 64, s59                                     // 000000008F0C: 803C3BC0
	v_mfma_f32_16x16x16_f16 v[132:135], v[56:57], a[66:67], v[132:135]// 000000008F10: D3CD0084 16128538
	buffer_load_dword v9, s[24:27], 0 idxen lds                // 000000008F18: E0512000 80060009
	v_mfma_f32_16x16x16_f16 v[132:135], v[58:59], a[70:71], v[132:135]// 000000008F20: D3CD0084 16128D3A
	s_cmp_lt_u32 s60, s58                                      // 000000008F28: BF0A3A3C
	s_cselect_b32 s68, s68, 0                                  // 000000008F2C: 85448044
	s_cselect_b32 s101, s101, 0                                // 000000008F30: 85658065
	s_cselect_b32 s69, s69, 0                                  // 000000008F34: 85458045
	v_mfma_f32_16x16x16_f16 v[132:135], v[60:61], a[74:75], v[132:135]// 000000008F38: D3CD0084 1612953C
	v_add_u32_e32 v1, s68, v1                                  // 000000008F40: 68020244
	v_add_u32_e32 v2, s68, v2                                  // 000000008F44: 68040444
	v_add_u32_e32 v3, s68, v3                                  // 000000008F48: 68060644
	v_add_u32_e32 v4, s68, v4                                  // 000000008F4C: 68080844
	v_mfma_f32_16x16x16_f16 v[132:135], v[62:63], a[78:79], v[132:135]// 000000008F50: D3CD0084 16129D3E
	v_add_u32_e32 v248, s101, v248                             // 000000008F58: 69F1F065
	v_add_u32_e32 v249, s101, v249                             // 000000008F5C: 69F3F265
	v_add_u32_e32 v250, s101, v250                             // 000000008F60: 69F5F465
	v_add_u32_e32 v251, s101, v251                             // 000000008F64: 69F7F665
	v_mfma_f32_16x16x16_f16 v[132:135], v[64:65], a[82:83], v[132:135]// 000000008F68: D3CD0084 1612A540
	s_mov_b32 m0, s75                                          // 000000008F70: BEFC004B
	v_add_u32_e32 v9, s69, v9                                  // 000000008F74: 68121245
	v_mfma_f32_16x16x16_f16 v[132:135], v[66:67], a[86:87], v[132:135]// 000000008F78: D3CD0084 1612AD42
	s_cmp_ge_u32 s59, 16                                       // 000000008F80: BF09903B
	s_cselect_b32 s66, s67, s66                                // 000000008F84: 85424243
	v_mfma_f32_16x16x16_f16 v[132:135], v[68:69], a[90:91], v[132:135]// 000000008F88: D3CD0084 1612B544
	s_addk_i32 s59, 0x10                                       // 000000008F90: B73B0010
	s_nop 0                                                    // 000000008F94: BF800000
	s_cmp_lt_i32 s59, s58                                      // 000000008F98: BF043A3B
	v_mfma_f32_16x16x16_f16 v[132:135], v[70:71], a[94:95], v[132:135]// 000000008F9C: D3CD0084 1612BD46
	s_cbranch_scc0 label_0F27                                  // 000000008FA4: BF84FAB3
	s_branch label_0F2A                                        // 000000008FA8: BF82FAB5

0000000000008fac <label_147F>:
	buffer_atomic_add_f32 v140, v7, s[32:35], 0 offen offset:256// 000000008FAC: E1341100 80088C07
	buffer_atomic_add_f32 v141, v8, s[32:35], 0 offen offset:256// 000000008FB4: E1341100 80088D08
	buffer_atomic_add_f32 v142, v7, s[32:35], 0 offen offset:384// 000000008FBC: E1341180 80088E07
	buffer_atomic_add_f32 v143, v8, s[32:35], 0 offen offset:384// 000000008FC4: E1341180 80088F08
	v_add_u32_e32 v7, s66, v7                                  // 000000008FCC: 680E0E42
	v_add_u32_e32 v8, s66, v8                                  // 000000008FD0: 68101042
	v_lshrrev_b32_e32 v28, 5, v0                               // 000000008FD4: 20380085
	v_mul_i32_i24_e32 v25, 0x42, v28                           // 000000008FD8: 0C3238FF 00000042
	v_and_b32_e32 v28, 31, v0                                  // 000000008FE0: 2638009F
	v_mul_i32_i24_e32 v29, 2, v28                              // 000000008FE4: 0C3A3882
	v_add_u32_e32 v25, v29, v25                                // 000000008FE8: 6832331D
	s_mul_i32 s60, s46, 0x420                                  // 000000008FEC: 923CFF2E 00000420
	v_add_u32_e32 v25, s60, v25                                // 000000008FF4: 6832323C
	v_lshlrev_b32_e32 v25, 2, v25                              // 000000008FF8: 24323282
	v_mul_f32_e32 v128, s47, v128                              // 000000008FFC: 0B01002F
	v_mul_f32_e32 v129, s47, v129                              // 000000009000: 0B03022F
	v_mul_f32_e32 v130, s47, v130                              // 000000009004: 0B05042F
	v_mul_f32_e32 v131, s47, v131                              // 000000009008: 0B07062F
	v_mul_f32_e32 v132, s47, v132                              // 00000000900C: 0B09082F
	v_mul_f32_e32 v133, s47, v133                              // 000000009010: 0B0B0A2F
	v_mul_f32_e32 v134, s47, v134                              // 000000009014: 0B0D0C2F
	v_mul_f32_e32 v135, s47, v135                              // 000000009018: 0B0F0E2F
	ds_write_b64 v20, v[128:129] offset:24320                  // 00000000901C: D89A5F00 00008014
	ds_write_b64 v20, v[130:131] offset:24832                  // 000000009024: D89A6100 00008214
	ds_write_b64 v20, v[132:133] offset:25344                  // 00000000902C: D89A6300 00008414
	ds_write_b64 v20, v[134:135] offset:25856                  // 000000009034: D89A6500 00008614
	s_waitcnt lgkmcnt(0)                                       // 00000000903C: BF8CC07F
	s_barrier                                                  // 000000009040: BF8A0000
	ds_read_b64 v[136:137], v19 offset:24320                   // 000000009044: D8EC5F00 88000013
	ds_read_b64 v[138:139], v19 offset:26368                   // 00000000904C: D8EC6700 8A000013
	ds_read_b64 v[140:141], v19 offset:28416                   // 000000009054: D8EC6F00 8C000013
	ds_read_b64 v[142:143], v19 offset:30464                   // 00000000905C: D8EC7700 8E000013
	s_waitcnt lgkmcnt(0)                                       // 000000009064: BF8CC07F
	s_barrier                                                  // 000000009068: BF8A0000
	buffer_atomic_add_f32 v136, v7, s[32:35], 0 offen          // 00000000906C: E1341000 80088807
	buffer_atomic_add_f32 v137, v8, s[32:35], 0 offen          // 000000009074: E1341000 80088908
	buffer_atomic_add_f32 v138, v7, s[32:35], 0 offen offset:128// 00000000907C: E1341080 80088A07
	buffer_atomic_add_f32 v139, v8, s[32:35], 0 offen offset:128// 000000009084: E1341080 80088B08
	buffer_atomic_add_f32 v140, v7, s[32:35], 0 offen offset:256// 00000000908C: E1341100 80088C07
	buffer_atomic_add_f32 v141, v8, s[32:35], 0 offen offset:256// 000000009094: E1341100 80088D08
	buffer_atomic_add_f32 v142, v7, s[32:35], 0 offen offset:384// 00000000909C: E1341180 80088E07
	buffer_atomic_add_f32 v143, v8, s[32:35], 0 offen offset:384// 0000000090A4: E1341180 80088F08
	v_lshrrev_b32_e32 v28, 4, v0                               // 0000000090AC: 20380084
	v_mul_i32_i24_e32 v24, 2, v28                              // 0000000090B0: 0C303882
	v_and_b32_e32 v28, 15, v0                                  // 0000000090B4: 2638008F
	v_mul_i32_i24_e32 v29, 0x42, v28                           // 0000000090B8: 0C3A38FF 00000042
	v_add_u32_e32 v24, v29, v24                                // 0000000090C0: 6830311D
	s_mul_i32 s60, s46, 0x420                                  // 0000000090C4: 923CFF2E 00000420
	v_add_u32_e32 v24, s60, v24                                // 0000000090CC: 6830303C
	v_lshlrev_b32_e32 v24, 2, v24                              // 0000000090D0: 24303082
	v_accvgpr_read_b32 v28, a160                               // 0000000090D4: D3D8401C 180001A0
	v_accvgpr_read_b32 v29, a161                               // 0000000090DC: D3D8401D 180001A1
	v_mul_f32_e32 v28, s47, v28                                // 0000000090E4: 0A38382F
	v_mul_f32_e32 v29, s47, v29                                // 0000000090E8: 0A3A3A2F
	v_cvt_pkrtz_f16_f32 v48, v28, v29                          // 0000000090EC: D2960030 00023B1C
	v_accvgpr_read_b32 v28, a162                               // 0000000090F4: D3D8401C 180001A2
	v_accvgpr_read_b32 v29, a163                               // 0000000090FC: D3D8401D 180001A3
	v_mul_f32_e32 v28, s47, v28                                // 000000009104: 0A38382F
	v_mul_f32_e32 v29, s47, v29                                // 000000009108: 0A3A3A2F
	v_cvt_pkrtz_f16_f32 v49, v28, v29                          // 00000000910C: D2960031 00023B1C
	v_accvgpr_read_b32 v28, a164                               // 000000009114: D3D8401C 180001A4
	v_accvgpr_read_b32 v29, a165                               // 00000000911C: D3D8401D 180001A5
	v_mul_f32_e32 v28, s47, v28                                // 000000009124: 0A38382F
	v_mul_f32_e32 v29, s47, v29                                // 000000009128: 0A3A3A2F
	v_cvt_pkrtz_f16_f32 v50, v28, v29                          // 00000000912C: D2960032 00023B1C
	v_accvgpr_read_b32 v28, a166                               // 000000009134: D3D8401C 180001A6
	v_accvgpr_read_b32 v29, a167                               // 00000000913C: D3D8401D 180001A7
	v_mul_f32_e32 v28, s47, v28                                // 000000009144: 0A38382F
	v_mul_f32_e32 v29, s47, v29                                // 000000009148: 0A3A3A2F
	v_cvt_pkrtz_f16_f32 v51, v28, v29                          // 00000000914C: D2960033 00023B1C
	v_accvgpr_read_b32 v28, a168                               // 000000009154: D3D8401C 180001A8
	v_accvgpr_read_b32 v29, a169                               // 00000000915C: D3D8401D 180001A9
	v_mul_f32_e32 v28, s47, v28                                // 000000009164: 0A38382F
	v_mul_f32_e32 v29, s47, v29                                // 000000009168: 0A3A3A2F
	v_cvt_pkrtz_f16_f32 v52, v28, v29                          // 00000000916C: D2960034 00023B1C
	v_accvgpr_read_b32 v28, a170                               // 000000009174: D3D8401C 180001AA
	v_accvgpr_read_b32 v29, a171                               // 00000000917C: D3D8401D 180001AB
	v_mul_f32_e32 v28, s47, v28                                // 000000009184: 0A38382F
	v_mul_f32_e32 v29, s47, v29                                // 000000009188: 0A3A3A2F
	v_cvt_pkrtz_f16_f32 v53, v28, v29                          // 00000000918C: D2960035 00023B1C
	v_accvgpr_read_b32 v28, a172                               // 000000009194: D3D8401C 180001AC
	v_accvgpr_read_b32 v29, a173                               // 00000000919C: D3D8401D 180001AD
	v_mul_f32_e32 v28, s47, v28                                // 0000000091A4: 0A38382F
	v_mul_f32_e32 v29, s47, v29                                // 0000000091A8: 0A3A3A2F
	v_cvt_pkrtz_f16_f32 v54, v28, v29                          // 0000000091AC: D2960036 00023B1C
	v_accvgpr_read_b32 v28, a174                               // 0000000091B4: D3D8401C 180001AE
	v_accvgpr_read_b32 v29, a175                               // 0000000091BC: D3D8401D 180001AF
	v_mul_f32_e32 v28, s47, v28                                // 0000000091C4: 0A38382F
	v_mul_f32_e32 v29, s47, v29                                // 0000000091C8: 0A3A3A2F
	v_cvt_pkrtz_f16_f32 v55, v28, v29                          // 0000000091CC: D2960037 00023B1C
	v_accvgpr_read_b32 v28, a176                               // 0000000091D4: D3D8401C 180001B0
	v_accvgpr_read_b32 v29, a177                               // 0000000091DC: D3D8401D 180001B1
	v_mul_f32_e32 v28, s47, v28                                // 0000000091E4: 0A38382F
	v_mul_f32_e32 v29, s47, v29                                // 0000000091E8: 0A3A3A2F
	v_cvt_pkrtz_f16_f32 v56, v28, v29                          // 0000000091EC: D2960038 00023B1C
	v_accvgpr_read_b32 v28, a178                               // 0000000091F4: D3D8401C 180001B2
	v_accvgpr_read_b32 v29, a179                               // 0000000091FC: D3D8401D 180001B3
	v_mul_f32_e32 v28, s47, v28                                // 000000009204: 0A38382F
	v_mul_f32_e32 v29, s47, v29                                // 000000009208: 0A3A3A2F
	v_cvt_pkrtz_f16_f32 v57, v28, v29                          // 00000000920C: D2960039 00023B1C
	v_accvgpr_read_b32 v28, a180                               // 000000009214: D3D8401C 180001B4
	v_accvgpr_read_b32 v29, a181                               // 00000000921C: D3D8401D 180001B5
	v_mul_f32_e32 v28, s47, v28                                // 000000009224: 0A38382F
	v_mul_f32_e32 v29, s47, v29                                // 000000009228: 0A3A3A2F
	v_cvt_pkrtz_f16_f32 v58, v28, v29                          // 00000000922C: D296003A 00023B1C
	v_accvgpr_read_b32 v28, a182                               // 000000009234: D3D8401C 180001B6
	v_accvgpr_read_b32 v29, a183                               // 00000000923C: D3D8401D 180001B7
	v_mul_f32_e32 v28, s47, v28                                // 000000009244: 0A38382F
	v_mul_f32_e32 v29, s47, v29                                // 000000009248: 0A3A3A2F
	v_cvt_pkrtz_f16_f32 v59, v28, v29                          // 00000000924C: D296003B 00023B1C
	v_accvgpr_read_b32 v28, a184                               // 000000009254: D3D8401C 180001B8
	v_accvgpr_read_b32 v29, a185                               // 00000000925C: D3D8401D 180001B9
	v_mul_f32_e32 v28, s47, v28                                // 000000009264: 0A38382F
	v_mul_f32_e32 v29, s47, v29                                // 000000009268: 0A3A3A2F
	v_cvt_pkrtz_f16_f32 v60, v28, v29                          // 00000000926C: D296003C 00023B1C
	v_accvgpr_read_b32 v28, a186                               // 000000009274: D3D8401C 180001BA
	v_accvgpr_read_b32 v29, a187                               // 00000000927C: D3D8401D 180001BB
	v_mul_f32_e32 v28, s47, v28                                // 000000009284: 0A38382F
	v_mul_f32_e32 v29, s47, v29                                // 000000009288: 0A3A3A2F
	v_cvt_pkrtz_f16_f32 v61, v28, v29                          // 00000000928C: D296003D 00023B1C
	v_accvgpr_read_b32 v28, a188                               // 000000009294: D3D8401C 180001BC
	v_accvgpr_read_b32 v29, a189                               // 00000000929C: D3D8401D 180001BD
	v_mul_f32_e32 v28, s47, v28                                // 0000000092A4: 0A38382F
	v_mul_f32_e32 v29, s47, v29                                // 0000000092A8: 0A3A3A2F
	v_cvt_pkrtz_f16_f32 v62, v28, v29                          // 0000000092AC: D296003E 00023B1C
	v_accvgpr_read_b32 v28, a190                               // 0000000092B4: D3D8401C 180001BE
	v_accvgpr_read_b32 v29, a191                               // 0000000092BC: D3D8401D 180001BF
	v_mul_f32_e32 v28, s47, v28                                // 0000000092C4: 0A38382F
	v_mul_f32_e32 v29, s47, v29                                // 0000000092C8: 0A3A3A2F
	v_cvt_pkrtz_f16_f32 v63, v28, v29                          // 0000000092CC: D296003F 00023B1C
	ds_write_b64 v25, v[48:49]                                 // 0000000092D4: D89A0000 00003019
	ds_write_b64 v25, v[50:51] offset:528                      // 0000000092DC: D89A0210 00003219
	ds_write_b64 v25, v[52:53] offset:1056                     // 0000000092E4: D89A0420 00003419
	ds_write_b64 v25, v[54:55] offset:1584                     // 0000000092EC: D89A0630 00003619
	ds_write_b64 v25, v[56:57] offset:2112                     // 0000000092F4: D89A0840 00003819
	ds_write_b64 v25, v[58:59] offset:2640                     // 0000000092FC: D89A0A50 00003A19
	ds_write_b64 v25, v[60:61] offset:3168                     // 000000009304: D89A0C60 00003C19
	ds_write_b64 v25, v[62:63] offset:3696                     // 00000000930C: D89A0E70 00003E19
	s_waitcnt lgkmcnt(0)                                       // 000000009314: BF8CC07F
	s_barrier                                                  // 000000009318: BF8A0000
	ds_read_b64 v[48:49], v24                                  // 00000000931C: D8EC0000 30000018
	ds_read_b64 v[50:51], v24 offset:128                       // 000000009324: D8EC0080 32000018
	ds_read_b64 v[52:53], v24 offset:32                        // 00000000932C: D8EC0020 34000018
	ds_read_b64 v[54:55], v24 offset:160                       // 000000009334: D8EC00A0 36000018
	ds_read_b64 v[56:57], v24 offset:64                        // 00000000933C: D8EC0040 38000018
	ds_read_b64 v[58:59], v24 offset:192                       // 000000009344: D8EC00C0 3A000018
	ds_read_b64 v[60:61], v24 offset:96                        // 00000000934C: D8EC0060 3C000018
	ds_read_b64 v[62:63], v24 offset:224                       // 000000009354: D8EC00E0 3E000018
	s_waitcnt lgkmcnt(0)                                       // 00000000935C: BF8CC07F
	s_mov_b32 s70, s52                                         // 000000009360: BEC60034
	s_mov_b64 exec, s[88:89]                                   // 000000009364: BEFE0158
	buffer_store_dwordx4 v[48:51], v5, s[36:39], 0 idxen       // 000000009368: E07C2000 80093005
	s_mov_b64 exec, s[84:85]                                   // 000000009370: BEFE0154
	v_add_u32_e32 v5, s70, v5                                  // 000000009374: 680A0A46
	s_mov_b64 exec, s[88:89]                                   // 000000009378: BEFE0158
	buffer_store_dwordx4 v[52:55], v5, s[36:39], 0 idxen       // 00000000937C: E07C2000 80093405
	s_mov_b64 exec, s[84:85]                                   // 000000009384: BEFE0154
	v_add_u32_e32 v5, s70, v5                                  // 000000009388: 680A0A46
	s_mov_b64 exec, s[88:89]                                   // 00000000938C: BEFE0158
	buffer_store_dwordx4 v[56:59], v5, s[36:39], 0 idxen       // 000000009390: E07C2000 80093805
	s_mov_b64 exec, s[84:85]                                   // 000000009398: BEFE0154
	v_add_u32_e32 v5, s70, v5                                  // 00000000939C: 680A0A46
	s_mov_b64 exec, s[88:89]                                   // 0000000093A0: BEFE0158
	buffer_store_dwordx4 v[60:63], v5, s[36:39], 0 idxen       // 0000000093A4: E07C2000 80093C05
	s_mov_b64 exec, s[84:85]                                   // 0000000093AC: BEFE0154
	v_add_u32_e32 v5, s70, v5                                  // 0000000093B0: 680A0A46
	s_mul_i32 s60, 12, s70                                     // 0000000093B4: 923C468C
	v_add_u32_e32 v5, s60, v5                                  // 0000000093B8: 680A0A3C
	s_barrier                                                  // 0000000093BC: BF8A0000
	s_cmp_ge_i32 1, s73                                        // 0000000093C0: BF034981
	s_cbranch_scc1 label_1700                                  // 0000000093C4: BF85017A
	v_accvgpr_read_b32 v28, a192                               // 0000000093C8: D3D8401C 180001C0
	v_accvgpr_read_b32 v29, a193                               // 0000000093D0: D3D8401D 180001C1
	v_mul_f32_e32 v28, s47, v28                                // 0000000093D8: 0A38382F
	v_mul_f32_e32 v29, s47, v29                                // 0000000093DC: 0A3A3A2F
	v_cvt_pkrtz_f16_f32 v64, v28, v29                          // 0000000093E0: D2960040 00023B1C
	v_accvgpr_read_b32 v28, a194                               // 0000000093E8: D3D8401C 180001C2
	v_accvgpr_read_b32 v29, a195                               // 0000000093F0: D3D8401D 180001C3
	v_mul_f32_e32 v28, s47, v28                                // 0000000093F8: 0A38382F
	v_mul_f32_e32 v29, s47, v29                                // 0000000093FC: 0A3A3A2F
	v_cvt_pkrtz_f16_f32 v65, v28, v29                          // 000000009400: D2960041 00023B1C
	v_accvgpr_read_b32 v28, a196                               // 000000009408: D3D8401C 180001C4
	v_accvgpr_read_b32 v29, a197                               // 000000009410: D3D8401D 180001C5
	v_mul_f32_e32 v28, s47, v28                                // 000000009418: 0A38382F
	v_mul_f32_e32 v29, s47, v29                                // 00000000941C: 0A3A3A2F
	v_cvt_pkrtz_f16_f32 v66, v28, v29                          // 000000009420: D2960042 00023B1C
	v_accvgpr_read_b32 v28, a198                               // 000000009428: D3D8401C 180001C6
	v_accvgpr_read_b32 v29, a199                               // 000000009430: D3D8401D 180001C7
	v_mul_f32_e32 v28, s47, v28                                // 000000009438: 0A38382F
	v_mul_f32_e32 v29, s47, v29                                // 00000000943C: 0A3A3A2F
	v_cvt_pkrtz_f16_f32 v67, v28, v29                          // 000000009440: D2960043 00023B1C
	v_accvgpr_read_b32 v28, a200                               // 000000009448: D3D8401C 180001C8
	v_accvgpr_read_b32 v29, a201                               // 000000009450: D3D8401D 180001C9
	v_mul_f32_e32 v28, s47, v28                                // 000000009458: 0A38382F
	v_mul_f32_e32 v29, s47, v29                                // 00000000945C: 0A3A3A2F
	v_cvt_pkrtz_f16_f32 v68, v28, v29                          // 000000009460: D2960044 00023B1C
	v_accvgpr_read_b32 v28, a202                               // 000000009468: D3D8401C 180001CA
	v_accvgpr_read_b32 v29, a203                               // 000000009470: D3D8401D 180001CB
	v_mul_f32_e32 v28, s47, v28                                // 000000009478: 0A38382F
	v_mul_f32_e32 v29, s47, v29                                // 00000000947C: 0A3A3A2F
	v_cvt_pkrtz_f16_f32 v69, v28, v29                          // 000000009480: D2960045 00023B1C
	v_accvgpr_read_b32 v28, a204                               // 000000009488: D3D8401C 180001CC
	v_accvgpr_read_b32 v29, a205                               // 000000009490: D3D8401D 180001CD
	v_mul_f32_e32 v28, s47, v28                                // 000000009498: 0A38382F
	v_mul_f32_e32 v29, s47, v29                                // 00000000949C: 0A3A3A2F
	v_cvt_pkrtz_f16_f32 v70, v28, v29                          // 0000000094A0: D2960046 00023B1C
	v_accvgpr_read_b32 v28, a206                               // 0000000094A8: D3D8401C 180001CE
	v_accvgpr_read_b32 v29, a207                               // 0000000094B0: D3D8401D 180001CF
	v_mul_f32_e32 v28, s47, v28                                // 0000000094B8: 0A38382F
	v_mul_f32_e32 v29, s47, v29                                // 0000000094BC: 0A3A3A2F
	v_cvt_pkrtz_f16_f32 v71, v28, v29                          // 0000000094C0: D2960047 00023B1C
	v_accvgpr_read_b32 v28, a208                               // 0000000094C8: D3D8401C 180001D0
	v_accvgpr_read_b32 v29, a209                               // 0000000094D0: D3D8401D 180001D1
	v_mul_f32_e32 v28, s47, v28                                // 0000000094D8: 0A38382F
	v_mul_f32_e32 v29, s47, v29                                // 0000000094DC: 0A3A3A2F
	v_cvt_pkrtz_f16_f32 v72, v28, v29                          // 0000000094E0: D2960048 00023B1C
	v_accvgpr_read_b32 v28, a210                               // 0000000094E8: D3D8401C 180001D2
	v_accvgpr_read_b32 v29, a211                               // 0000000094F0: D3D8401D 180001D3
	v_mul_f32_e32 v28, s47, v28                                // 0000000094F8: 0A38382F
	v_mul_f32_e32 v29, s47, v29                                // 0000000094FC: 0A3A3A2F
	v_cvt_pkrtz_f16_f32 v73, v28, v29                          // 000000009500: D2960049 00023B1C
	v_accvgpr_read_b32 v28, a212                               // 000000009508: D3D8401C 180001D4
	v_accvgpr_read_b32 v29, a213                               // 000000009510: D3D8401D 180001D5
	v_mul_f32_e32 v28, s47, v28                                // 000000009518: 0A38382F
	v_mul_f32_e32 v29, s47, v29                                // 00000000951C: 0A3A3A2F
	v_cvt_pkrtz_f16_f32 v74, v28, v29                          // 000000009520: D296004A 00023B1C
	v_accvgpr_read_b32 v28, a214                               // 000000009528: D3D8401C 180001D6
	v_accvgpr_read_b32 v29, a215                               // 000000009530: D3D8401D 180001D7
	v_mul_f32_e32 v28, s47, v28                                // 000000009538: 0A38382F
	v_mul_f32_e32 v29, s47, v29                                // 00000000953C: 0A3A3A2F
	v_cvt_pkrtz_f16_f32 v75, v28, v29                          // 000000009540: D296004B 00023B1C
	v_accvgpr_read_b32 v28, a216                               // 000000009548: D3D8401C 180001D8
	v_accvgpr_read_b32 v29, a217                               // 000000009550: D3D8401D 180001D9
	v_mul_f32_e32 v28, s47, v28                                // 000000009558: 0A38382F
	v_mul_f32_e32 v29, s47, v29                                // 00000000955C: 0A3A3A2F
	v_cvt_pkrtz_f16_f32 v76, v28, v29                          // 000000009560: D296004C 00023B1C
	v_accvgpr_read_b32 v28, a218                               // 000000009568: D3D8401C 180001DA
	v_accvgpr_read_b32 v29, a219                               // 000000009570: D3D8401D 180001DB
	v_mul_f32_e32 v28, s47, v28                                // 000000009578: 0A38382F
	v_mul_f32_e32 v29, s47, v29                                // 00000000957C: 0A3A3A2F
	v_cvt_pkrtz_f16_f32 v77, v28, v29                          // 000000009580: D296004D 00023B1C
	v_accvgpr_read_b32 v28, a220                               // 000000009588: D3D8401C 180001DC
	v_accvgpr_read_b32 v29, a221                               // 000000009590: D3D8401D 180001DD
	v_mul_f32_e32 v28, s47, v28                                // 000000009598: 0A38382F
	v_mul_f32_e32 v29, s47, v29                                // 00000000959C: 0A3A3A2F
	v_cvt_pkrtz_f16_f32 v78, v28, v29                          // 0000000095A0: D296004E 00023B1C
	v_accvgpr_read_b32 v28, a222                               // 0000000095A8: D3D8401C 180001DE
	v_accvgpr_read_b32 v29, a223                               // 0000000095B0: D3D8401D 180001DF
	v_mul_f32_e32 v28, s47, v28                                // 0000000095B8: 0A38382F
	v_mul_f32_e32 v29, s47, v29                                // 0000000095BC: 0A3A3A2F
	v_cvt_pkrtz_f16_f32 v79, v28, v29                          // 0000000095C0: D296004F 00023B1C
	ds_write_b64 v25, v[64:65] offset:16896                    // 0000000095C8: D89A4200 00004019
	ds_write_b64 v25, v[66:67] offset:17424                    // 0000000095D0: D89A4410 00004219
	ds_write_b64 v25, v[68:69] offset:17952                    // 0000000095D8: D89A4620 00004419
	ds_write_b64 v25, v[70:71] offset:18480                    // 0000000095E0: D89A4830 00004619
	ds_write_b64 v25, v[72:73] offset:19008                    // 0000000095E8: D89A4A40 00004819
	ds_write_b64 v25, v[74:75] offset:19536                    // 0000000095F0: D89A4C50 00004A19
	ds_write_b64 v25, v[76:77] offset:20064                    // 0000000095F8: D89A4E60 00004C19
	ds_write_b64 v25, v[78:79] offset:20592                    // 000000009600: D89A5070 00004E19
	s_waitcnt lgkmcnt(0)                                       // 000000009608: BF8CC07F
	s_barrier                                                  // 00000000960C: BF8A0000
	ds_read_b64 v[64:65], v24 offset:16896                     // 000000009610: D8EC4200 40000018
	ds_read_b64 v[66:67], v24 offset:17024                     // 000000009618: D8EC4280 42000018
	ds_read_b64 v[68:69], v24 offset:16928                     // 000000009620: D8EC4220 44000018
	ds_read_b64 v[70:71], v24 offset:17056                     // 000000009628: D8EC42A0 46000018
	ds_read_b64 v[72:73], v24 offset:16960                     // 000000009630: D8EC4240 48000018
	ds_read_b64 v[74:75], v24 offset:17088                     // 000000009638: D8EC42C0 4A000018
	ds_read_b64 v[76:77], v24 offset:16992                     // 000000009640: D8EC4260 4C000018
	ds_read_b64 v[78:79], v24 offset:17120                     // 000000009648: D8EC42E0 4E000018
	s_waitcnt lgkmcnt(0)                                       // 000000009650: BF8CC07F
	s_mov_b32 s70, s52                                         // 000000009654: BEC60034
	s_mov_b64 exec, s[88:89]                                   // 000000009658: BEFE0158
	buffer_store_dwordx4 v[64:67], v5, s[36:39], 0 idxen       // 00000000965C: E07C2000 80094005
	s_mov_b64 exec, s[84:85]                                   // 000000009664: BEFE0154
	v_add_u32_e32 v5, s70, v5                                  // 000000009668: 680A0A46
	s_mov_b64 exec, s[88:89]                                   // 00000000966C: BEFE0158
	buffer_store_dwordx4 v[68:71], v5, s[36:39], 0 idxen       // 000000009670: E07C2000 80094405
	s_mov_b64 exec, s[84:85]                                   // 000000009678: BEFE0154
	v_add_u32_e32 v5, s70, v5                                  // 00000000967C: 680A0A46
	s_mov_b64 exec, s[88:89]                                   // 000000009680: BEFE0158
	buffer_store_dwordx4 v[72:75], v5, s[36:39], 0 idxen       // 000000009684: E07C2000 80094805
	s_mov_b64 exec, s[84:85]                                   // 00000000968C: BEFE0154
	v_add_u32_e32 v5, s70, v5                                  // 000000009690: 680A0A46
	s_mov_b64 exec, s[88:89]                                   // 000000009694: BEFE0158
	buffer_store_dwordx4 v[76:79], v5, s[36:39], 0 idxen       // 000000009698: E07C2000 80094C05
	s_mov_b64 exec, s[84:85]                                   // 0000000096A0: BEFE0154
	v_add_u32_e32 v5, s70, v5                                  // 0000000096A4: 680A0A46
	s_mul_i32 s60, 12, s70                                     // 0000000096A8: 923C468C
	v_add_u32_e32 v5, s60, v5                                  // 0000000096AC: 680A0A3C
	s_barrier                                                  // 0000000096B0: BF8A0000
	s_cmp_ge_i32 2, s73                                        // 0000000096B4: BF034982
	s_cbranch_scc1 label_1700                                  // 0000000096B8: BF8500BD
	v_accvgpr_read_b32 v28, a224                               // 0000000096BC: D3D8401C 180001E0
	v_accvgpr_read_b32 v29, a225                               // 0000000096C4: D3D8401D 180001E1
	v_mul_f32_e32 v28, s47, v28                                // 0000000096CC: 0A38382F
	v_mul_f32_e32 v29, s47, v29                                // 0000000096D0: 0A3A3A2F
	v_cvt_pkrtz_f16_f32 v80, v28, v29                          // 0000000096D4: D2960050 00023B1C
	v_accvgpr_read_b32 v28, a226                               // 0000000096DC: D3D8401C 180001E2
	v_accvgpr_read_b32 v29, a227                               // 0000000096E4: D3D8401D 180001E3
	v_mul_f32_e32 v28, s47, v28                                // 0000000096EC: 0A38382F
	v_mul_f32_e32 v29, s47, v29                                // 0000000096F0: 0A3A3A2F
	v_cvt_pkrtz_f16_f32 v81, v28, v29                          // 0000000096F4: D2960051 00023B1C
	v_accvgpr_read_b32 v28, a228                               // 0000000096FC: D3D8401C 180001E4
	v_accvgpr_read_b32 v29, a229                               // 000000009704: D3D8401D 180001E5
	v_mul_f32_e32 v28, s47, v28                                // 00000000970C: 0A38382F
	v_mul_f32_e32 v29, s47, v29                                // 000000009710: 0A3A3A2F
	v_cvt_pkrtz_f16_f32 v82, v28, v29                          // 000000009714: D2960052 00023B1C
	v_accvgpr_read_b32 v28, a230                               // 00000000971C: D3D8401C 180001E6
	v_accvgpr_read_b32 v29, a231                               // 000000009724: D3D8401D 180001E7
	v_mul_f32_e32 v28, s47, v28                                // 00000000972C: 0A38382F
	v_mul_f32_e32 v29, s47, v29                                // 000000009730: 0A3A3A2F
	v_cvt_pkrtz_f16_f32 v83, v28, v29                          // 000000009734: D2960053 00023B1C
	v_accvgpr_read_b32 v28, a232                               // 00000000973C: D3D8401C 180001E8
	v_accvgpr_read_b32 v29, a233                               // 000000009744: D3D8401D 180001E9
	v_mul_f32_e32 v28, s47, v28                                // 00000000974C: 0A38382F
	v_mul_f32_e32 v29, s47, v29                                // 000000009750: 0A3A3A2F
	v_cvt_pkrtz_f16_f32 v84, v28, v29                          // 000000009754: D2960054 00023B1C
	v_accvgpr_read_b32 v28, a234                               // 00000000975C: D3D8401C 180001EA
	v_accvgpr_read_b32 v29, a235                               // 000000009764: D3D8401D 180001EB
	v_mul_f32_e32 v28, s47, v28                                // 00000000976C: 0A38382F
	v_mul_f32_e32 v29, s47, v29                                // 000000009770: 0A3A3A2F
	v_cvt_pkrtz_f16_f32 v85, v28, v29                          // 000000009774: D2960055 00023B1C
	v_accvgpr_read_b32 v28, a236                               // 00000000977C: D3D8401C 180001EC
	v_accvgpr_read_b32 v29, a237                               // 000000009784: D3D8401D 180001ED
	v_mul_f32_e32 v28, s47, v28                                // 00000000978C: 0A38382F
	v_mul_f32_e32 v29, s47, v29                                // 000000009790: 0A3A3A2F
	v_cvt_pkrtz_f16_f32 v86, v28, v29                          // 000000009794: D2960056 00023B1C
	v_accvgpr_read_b32 v28, a238                               // 00000000979C: D3D8401C 180001EE
	v_accvgpr_read_b32 v29, a239                               // 0000000097A4: D3D8401D 180001EF
	v_mul_f32_e32 v28, s47, v28                                // 0000000097AC: 0A38382F
	v_mul_f32_e32 v29, s47, v29                                // 0000000097B0: 0A3A3A2F
	v_cvt_pkrtz_f16_f32 v87, v28, v29                          // 0000000097B4: D2960057 00023B1C
	v_accvgpr_read_b32 v28, a240                               // 0000000097BC: D3D8401C 180001F0
	v_accvgpr_read_b32 v29, a241                               // 0000000097C4: D3D8401D 180001F1
	v_mul_f32_e32 v28, s47, v28                                // 0000000097CC: 0A38382F
	v_mul_f32_e32 v29, s47, v29                                // 0000000097D0: 0A3A3A2F
	v_cvt_pkrtz_f16_f32 v88, v28, v29                          // 0000000097D4: D2960058 00023B1C
	v_accvgpr_read_b32 v28, a242                               // 0000000097DC: D3D8401C 180001F2
	v_accvgpr_read_b32 v29, a243                               // 0000000097E4: D3D8401D 180001F3
	v_mul_f32_e32 v28, s47, v28                                // 0000000097EC: 0A38382F
	v_mul_f32_e32 v29, s47, v29                                // 0000000097F0: 0A3A3A2F
	v_cvt_pkrtz_f16_f32 v89, v28, v29                          // 0000000097F4: D2960059 00023B1C
	v_accvgpr_read_b32 v28, a244                               // 0000000097FC: D3D8401C 180001F4
	v_accvgpr_read_b32 v29, a245                               // 000000009804: D3D8401D 180001F5
	v_mul_f32_e32 v28, s47, v28                                // 00000000980C: 0A38382F
	v_mul_f32_e32 v29, s47, v29                                // 000000009810: 0A3A3A2F
	v_cvt_pkrtz_f16_f32 v90, v28, v29                          // 000000009814: D296005A 00023B1C
	v_accvgpr_read_b32 v28, a246                               // 00000000981C: D3D8401C 180001F6
	v_accvgpr_read_b32 v29, a247                               // 000000009824: D3D8401D 180001F7
	v_mul_f32_e32 v28, s47, v28                                // 00000000982C: 0A38382F
	v_mul_f32_e32 v29, s47, v29                                // 000000009830: 0A3A3A2F
	v_cvt_pkrtz_f16_f32 v91, v28, v29                          // 000000009834: D296005B 00023B1C
	v_accvgpr_read_b32 v28, a248                               // 00000000983C: D3D8401C 180001F8
	v_accvgpr_read_b32 v29, a249                               // 000000009844: D3D8401D 180001F9
	v_mul_f32_e32 v28, s47, v28                                // 00000000984C: 0A38382F
	v_mul_f32_e32 v29, s47, v29                                // 000000009850: 0A3A3A2F
	v_cvt_pkrtz_f16_f32 v92, v28, v29                          // 000000009854: D296005C 00023B1C
	v_accvgpr_read_b32 v28, a250                               // 00000000985C: D3D8401C 180001FA
	v_accvgpr_read_b32 v29, a251                               // 000000009864: D3D8401D 180001FB
	v_mul_f32_e32 v28, s47, v28                                // 00000000986C: 0A38382F
	v_mul_f32_e32 v29, s47, v29                                // 000000009870: 0A3A3A2F
	v_cvt_pkrtz_f16_f32 v93, v28, v29                          // 000000009874: D296005D 00023B1C
	v_accvgpr_read_b32 v28, a252                               // 00000000987C: D3D8401C 180001FC
	v_accvgpr_read_b32 v29, a253                               // 000000009884: D3D8401D 180001FD
	v_mul_f32_e32 v28, s47, v28                                // 00000000988C: 0A38382F
	v_mul_f32_e32 v29, s47, v29                                // 000000009890: 0A3A3A2F
	v_cvt_pkrtz_f16_f32 v94, v28, v29                          // 000000009894: D296005E 00023B1C
	v_accvgpr_read_b32 v28, a254                               // 00000000989C: D3D8401C 180001FE
	v_accvgpr_read_b32 v29, a255                               // 0000000098A4: D3D8401D 180001FF
	v_mul_f32_e32 v28, s47, v28                                // 0000000098AC: 0A38382F
	v_mul_f32_e32 v29, s47, v29                                // 0000000098B0: 0A3A3A2F
	v_cvt_pkrtz_f16_f32 v95, v28, v29                          // 0000000098B4: D296005F 00023B1C
	ds_write_b64 v25, v[80:81] offset:33792                    // 0000000098BC: D89A8400 00005019
	ds_write_b64 v25, v[82:83] offset:34320                    // 0000000098C4: D89A8610 00005219
	ds_write_b64 v25, v[84:85] offset:34848                    // 0000000098CC: D89A8820 00005419
	ds_write_b64 v25, v[86:87] offset:35376                    // 0000000098D4: D89A8A30 00005619
	ds_write_b64 v25, v[88:89] offset:35904                    // 0000000098DC: D89A8C40 00005819
	ds_write_b64 v25, v[90:91] offset:36432                    // 0000000098E4: D89A8E50 00005A19
	ds_write_b64 v25, v[92:93] offset:36960                    // 0000000098EC: D89A9060 00005C19
	ds_write_b64 v25, v[94:95] offset:37488                    // 0000000098F4: D89A9270 00005E19
	s_waitcnt lgkmcnt(0)                                       // 0000000098FC: BF8CC07F
	s_barrier                                                  // 000000009900: BF8A0000
	ds_read_b64 v[80:81], v24 offset:33792                     // 000000009904: D8EC8400 50000018
	ds_read_b64 v[82:83], v24 offset:33920                     // 00000000990C: D8EC8480 52000018
	ds_read_b64 v[84:85], v24 offset:33824                     // 000000009914: D8EC8420 54000018
	ds_read_b64 v[86:87], v24 offset:33952                     // 00000000991C: D8EC84A0 56000018
	ds_read_b64 v[88:89], v24 offset:33856                     // 000000009924: D8EC8440 58000018
	ds_read_b64 v[90:91], v24 offset:33984                     // 00000000992C: D8EC84C0 5A000018
	ds_read_b64 v[92:93], v24 offset:33888                     // 000000009934: D8EC8460 5C000018
	ds_read_b64 v[94:95], v24 offset:34016                     // 00000000993C: D8EC84E0 5E000018
	s_waitcnt lgkmcnt(0)                                       // 000000009944: BF8CC07F
	s_mov_b32 s70, s52                                         // 000000009948: BEC60034
	s_mov_b64 exec, s[88:89]                                   // 00000000994C: BEFE0158
	buffer_store_dwordx4 v[80:83], v5, s[36:39], 0 idxen       // 000000009950: E07C2000 80095005
	s_mov_b64 exec, s[84:85]                                   // 000000009958: BEFE0154
	v_add_u32_e32 v5, s70, v5                                  // 00000000995C: 680A0A46
	s_mov_b64 exec, s[88:89]                                   // 000000009960: BEFE0158
	buffer_store_dwordx4 v[84:87], v5, s[36:39], 0 idxen       // 000000009964: E07C2000 80095405
	s_mov_b64 exec, s[84:85]                                   // 00000000996C: BEFE0154
	v_add_u32_e32 v5, s70, v5                                  // 000000009970: 680A0A46
	s_mov_b64 exec, s[88:89]                                   // 000000009974: BEFE0158
	buffer_store_dwordx4 v[88:91], v5, s[36:39], 0 idxen       // 000000009978: E07C2000 80095805
	s_mov_b64 exec, s[84:85]                                   // 000000009980: BEFE0154
	v_add_u32_e32 v5, s70, v5                                  // 000000009984: 680A0A46
	s_mov_b64 exec, s[88:89]                                   // 000000009988: BEFE0158
	buffer_store_dwordx4 v[92:95], v5, s[36:39], 0 idxen       // 00000000998C: E07C2000 80095C05
	s_mov_b64 exec, s[84:85]                                   // 000000009994: BEFE0154
	v_add_u32_e32 v5, s70, v5                                  // 000000009998: 680A0A46
	s_mul_i32 s60, 12, s70                                     // 00000000999C: 923C468C
	v_add_u32_e32 v5, s60, v5                                  // 0000000099A0: 680A0A3C
	s_barrier                                                  // 0000000099A4: BF8A0000
	s_cmp_ge_i32 3, s73                                        // 0000000099A8: BF034983
	s_cbranch_scc1 label_1700                                  // 0000000099AC: BF850000

00000000000099b0 <label_1700>:
	v_mov_b32_e32 v28, v152                                    // 0000000099B0: 7E380398
	v_mov_b32_e32 v29, v153                                    // 0000000099B4: 7E3A0399
	v_cvt_pkrtz_f16_f32 v152, v28, v29                         // 0000000099B8: D2960098 00023B1C
	v_mov_b32_e32 v28, v154                                    // 0000000099C0: 7E38039A
	v_mov_b32_e32 v29, v155                                    // 0000000099C4: 7E3A039B
	v_cvt_pkrtz_f16_f32 v153, v28, v29                         // 0000000099C8: D2960099 00023B1C
	v_mov_b32_e32 v28, v156                                    // 0000000099D0: 7E38039C
	v_mov_b32_e32 v29, v157                                    // 0000000099D4: 7E3A039D
	v_cvt_pkrtz_f16_f32 v154, v28, v29                         // 0000000099D8: D296009A 00023B1C
	v_mov_b32_e32 v28, v158                                    // 0000000099E0: 7E38039E
	v_mov_b32_e32 v29, v159                                    // 0000000099E4: 7E3A039F
	v_cvt_pkrtz_f16_f32 v155, v28, v29                         // 0000000099E8: D296009B 00023B1C
	v_mov_b32_e32 v28, v160                                    // 0000000099F0: 7E3803A0
	v_mov_b32_e32 v29, v161                                    // 0000000099F4: 7E3A03A1
	v_cvt_pkrtz_f16_f32 v156, v28, v29                         // 0000000099F8: D296009C 00023B1C
	v_mov_b32_e32 v28, v162                                    // 000000009A00: 7E3803A2
	v_mov_b32_e32 v29, v163                                    // 000000009A04: 7E3A03A3
	v_cvt_pkrtz_f16_f32 v157, v28, v29                         // 000000009A08: D296009D 00023B1C
	v_mov_b32_e32 v28, v164                                    // 000000009A10: 7E3803A4
	v_mov_b32_e32 v29, v165                                    // 000000009A14: 7E3A03A5
	v_cvt_pkrtz_f16_f32 v158, v28, v29                         // 000000009A18: D296009E 00023B1C
	v_mov_b32_e32 v28, v166                                    // 000000009A20: 7E3803A6
	v_mov_b32_e32 v29, v167                                    // 000000009A24: 7E3A03A7
	v_cvt_pkrtz_f16_f32 v159, v28, v29                         // 000000009A28: D296009F 00023B1C
	v_mov_b32_e32 v28, v168                                    // 000000009A30: 7E3803A8
	v_mov_b32_e32 v29, v169                                    // 000000009A34: 7E3A03A9
	v_cvt_pkrtz_f16_f32 v160, v28, v29                         // 000000009A38: D29600A0 00023B1C
	v_mov_b32_e32 v28, v170                                    // 000000009A40: 7E3803AA
	v_mov_b32_e32 v29, v171                                    // 000000009A44: 7E3A03AB
	v_cvt_pkrtz_f16_f32 v161, v28, v29                         // 000000009A48: D29600A1 00023B1C
	v_mov_b32_e32 v28, v172                                    // 000000009A50: 7E3803AC
	v_mov_b32_e32 v29, v173                                    // 000000009A54: 7E3A03AD
	v_cvt_pkrtz_f16_f32 v162, v28, v29                         // 000000009A58: D29600A2 00023B1C
	v_mov_b32_e32 v28, v174                                    // 000000009A60: 7E3803AE
	v_mov_b32_e32 v29, v175                                    // 000000009A64: 7E3A03AF
	v_cvt_pkrtz_f16_f32 v163, v28, v29                         // 000000009A68: D29600A3 00023B1C
	v_mov_b32_e32 v28, v176                                    // 000000009A70: 7E3803B0
	v_mov_b32_e32 v29, v177                                    // 000000009A74: 7E3A03B1
	v_cvt_pkrtz_f16_f32 v164, v28, v29                         // 000000009A78: D29600A4 00023B1C
	v_mov_b32_e32 v28, v178                                    // 000000009A80: 7E3803B2
	v_mov_b32_e32 v29, v179                                    // 000000009A84: 7E3A03B3
	v_cvt_pkrtz_f16_f32 v165, v28, v29                         // 000000009A88: D29600A5 00023B1C
	v_mov_b32_e32 v28, v180                                    // 000000009A90: 7E3803B4
	v_mov_b32_e32 v29, v181                                    // 000000009A94: 7E3A03B5
	v_cvt_pkrtz_f16_f32 v166, v28, v29                         // 000000009A98: D29600A6 00023B1C
	v_mov_b32_e32 v28, v182                                    // 000000009AA0: 7E3803B6
	v_mov_b32_e32 v29, v183                                    // 000000009AA4: 7E3A03B7
	v_cvt_pkrtz_f16_f32 v167, v28, v29                         // 000000009AA8: D29600A7 00023B1C
	ds_write_b64 v25, v[152:153]                               // 000000009AB0: D89A0000 00009819
	ds_write_b64 v25, v[154:155] offset:528                    // 000000009AB8: D89A0210 00009A19
	ds_write_b64 v25, v[156:157] offset:1056                   // 000000009AC0: D89A0420 00009C19
	ds_write_b64 v25, v[158:159] offset:1584                   // 000000009AC8: D89A0630 00009E19
	ds_write_b64 v25, v[160:161] offset:2112                   // 000000009AD0: D89A0840 0000A019
	ds_write_b64 v25, v[162:163] offset:2640                   // 000000009AD8: D89A0A50 0000A219
	ds_write_b64 v25, v[164:165] offset:3168                   // 000000009AE0: D89A0C60 0000A419
	ds_write_b64 v25, v[166:167] offset:3696                   // 000000009AE8: D89A0E70 0000A619
	s_waitcnt lgkmcnt(0)                                       // 000000009AF0: BF8CC07F
	s_barrier                                                  // 000000009AF4: BF8A0000
	ds_read_b64 v[152:153], v24                                // 000000009AF8: D8EC0000 98000018
	ds_read_b64 v[154:155], v24 offset:128                     // 000000009B00: D8EC0080 9A000018
	ds_read_b64 v[156:157], v24 offset:32                      // 000000009B08: D8EC0020 9C000018
	ds_read_b64 v[158:159], v24 offset:160                     // 000000009B10: D8EC00A0 9E000018
	ds_read_b64 v[160:161], v24 offset:64                      // 000000009B18: D8EC0040 A0000018
	ds_read_b64 v[162:163], v24 offset:192                     // 000000009B20: D8EC00C0 A2000018
	ds_read_b64 v[164:165], v24 offset:96                      // 000000009B28: D8EC0060 A4000018
	ds_read_b64 v[166:167], v24 offset:224                     // 000000009B30: D8EC00E0 A6000018
	s_waitcnt lgkmcnt(0)                                       // 000000009B38: BF8CC07F
	s_mov_b32 s70, s53                                         // 000000009B3C: BEC60035
	s_mov_b64 exec, s[88:89]                                   // 000000009B40: BEFE0158
	buffer_store_dwordx4 v[152:155], v6, s[40:43], 0 idxen     // 000000009B44: E07C2000 800A9806
	s_mov_b64 exec, s[84:85]                                   // 000000009B4C: BEFE0154
	v_add_u32_e32 v6, s70, v6                                  // 000000009B50: 680C0C46
	s_mov_b64 exec, s[88:89]                                   // 000000009B54: BEFE0158
	buffer_store_dwordx4 v[156:159], v6, s[40:43], 0 idxen     // 000000009B58: E07C2000 800A9C06
	s_mov_b64 exec, s[84:85]                                   // 000000009B60: BEFE0154
	v_add_u32_e32 v6, s70, v6                                  // 000000009B64: 680C0C46
	s_mov_b64 exec, s[88:89]                                   // 000000009B68: BEFE0158
	buffer_store_dwordx4 v[160:163], v6, s[40:43], 0 idxen     // 000000009B6C: E07C2000 800AA006
	s_mov_b64 exec, s[84:85]                                   // 000000009B74: BEFE0154
	v_add_u32_e32 v6, s70, v6                                  // 000000009B78: 680C0C46
	s_mov_b64 exec, s[88:89]                                   // 000000009B7C: BEFE0158
	buffer_store_dwordx4 v[164:167], v6, s[40:43], 0 idxen     // 000000009B80: E07C2000 800AA406
	s_mov_b64 exec, s[84:85]                                   // 000000009B88: BEFE0154
	v_add_u32_e32 v6, s70, v6                                  // 000000009B8C: 680C0C46
	s_mul_i32 s60, 12, s70                                     // 000000009B90: 923C468C
	v_add_u32_e32 v6, s60, v6                                  // 000000009B94: 680C0C3C
	s_cmp_ge_i32 1, s73                                        // 000000009B98: BF034981
	s_cbranch_scc1 label_1874                                  // 000000009B9C: BF8500F8
	v_mov_b32_e32 v28, v184                                    // 000000009BA0: 7E3803B8
	v_mov_b32_e32 v29, v185                                    // 000000009BA4: 7E3A03B9
	v_cvt_pkrtz_f16_f32 v168, v28, v29                         // 000000009BA8: D29600A8 00023B1C
	v_mov_b32_e32 v28, v186                                    // 000000009BB0: 7E3803BA
	v_mov_b32_e32 v29, v187                                    // 000000009BB4: 7E3A03BB
	v_cvt_pkrtz_f16_f32 v169, v28, v29                         // 000000009BB8: D29600A9 00023B1C
	v_mov_b32_e32 v28, v188                                    // 000000009BC0: 7E3803BC
	v_mov_b32_e32 v29, v189                                    // 000000009BC4: 7E3A03BD
	v_cvt_pkrtz_f16_f32 v170, v28, v29                         // 000000009BC8: D29600AA 00023B1C
	v_mov_b32_e32 v28, v190                                    // 000000009BD0: 7E3803BE
	v_mov_b32_e32 v29, v191                                    // 000000009BD4: 7E3A03BF
	v_cvt_pkrtz_f16_f32 v171, v28, v29                         // 000000009BD8: D29600AB 00023B1C
	v_mov_b32_e32 v28, v192                                    // 000000009BE0: 7E3803C0
	v_mov_b32_e32 v29, v193                                    // 000000009BE4: 7E3A03C1
	v_cvt_pkrtz_f16_f32 v172, v28, v29                         // 000000009BE8: D29600AC 00023B1C
	v_mov_b32_e32 v28, v194                                    // 000000009BF0: 7E3803C2
	v_mov_b32_e32 v29, v195                                    // 000000009BF4: 7E3A03C3
	v_cvt_pkrtz_f16_f32 v173, v28, v29                         // 000000009BF8: D29600AD 00023B1C
	v_mov_b32_e32 v28, v196                                    // 000000009C00: 7E3803C4
	v_mov_b32_e32 v29, v197                                    // 000000009C04: 7E3A03C5
	v_cvt_pkrtz_f16_f32 v174, v28, v29                         // 000000009C08: D29600AE 00023B1C
	v_mov_b32_e32 v28, v198                                    // 000000009C10: 7E3803C6
	v_mov_b32_e32 v29, v199                                    // 000000009C14: 7E3A03C7
	v_cvt_pkrtz_f16_f32 v175, v28, v29                         // 000000009C18: D29600AF 00023B1C
	v_mov_b32_e32 v28, v200                                    // 000000009C20: 7E3803C8
	v_mov_b32_e32 v29, v201                                    // 000000009C24: 7E3A03C9
	v_cvt_pkrtz_f16_f32 v176, v28, v29                         // 000000009C28: D29600B0 00023B1C
	v_mov_b32_e32 v28, v202                                    // 000000009C30: 7E3803CA
	v_mov_b32_e32 v29, v203                                    // 000000009C34: 7E3A03CB
	v_cvt_pkrtz_f16_f32 v177, v28, v29                         // 000000009C38: D29600B1 00023B1C
	v_mov_b32_e32 v28, v204                                    // 000000009C40: 7E3803CC
	v_mov_b32_e32 v29, v205                                    // 000000009C44: 7E3A03CD
	v_cvt_pkrtz_f16_f32 v178, v28, v29                         // 000000009C48: D29600B2 00023B1C
	v_mov_b32_e32 v28, v206                                    // 000000009C50: 7E3803CE
	v_mov_b32_e32 v29, v207                                    // 000000009C54: 7E3A03CF
	v_cvt_pkrtz_f16_f32 v179, v28, v29                         // 000000009C58: D29600B3 00023B1C
	v_mov_b32_e32 v28, v208                                    // 000000009C60: 7E3803D0
	v_mov_b32_e32 v29, v209                                    // 000000009C64: 7E3A03D1
	v_cvt_pkrtz_f16_f32 v180, v28, v29                         // 000000009C68: D29600B4 00023B1C
	v_mov_b32_e32 v28, v210                                    // 000000009C70: 7E3803D2
	v_mov_b32_e32 v29, v211                                    // 000000009C74: 7E3A03D3
	v_cvt_pkrtz_f16_f32 v181, v28, v29                         // 000000009C78: D29600B5 00023B1C
	v_mov_b32_e32 v28, v212                                    // 000000009C80: 7E3803D4
	v_mov_b32_e32 v29, v213                                    // 000000009C84: 7E3A03D5
	v_cvt_pkrtz_f16_f32 v182, v28, v29                         // 000000009C88: D29600B6 00023B1C
	v_mov_b32_e32 v28, v214                                    // 000000009C90: 7E3803D6
	v_mov_b32_e32 v29, v215                                    // 000000009C94: 7E3A03D7
	v_cvt_pkrtz_f16_f32 v183, v28, v29                         // 000000009C98: D29600B7 00023B1C
	ds_write_b64 v25, v[168:169] offset:16896                  // 000000009CA0: D89A4200 0000A819
	ds_write_b64 v25, v[170:171] offset:17424                  // 000000009CA8: D89A4410 0000AA19
	ds_write_b64 v25, v[172:173] offset:17952                  // 000000009CB0: D89A4620 0000AC19
	ds_write_b64 v25, v[174:175] offset:18480                  // 000000009CB8: D89A4830 0000AE19
	ds_write_b64 v25, v[176:177] offset:19008                  // 000000009CC0: D89A4A40 0000B019
	ds_write_b64 v25, v[178:179] offset:19536                  // 000000009CC8: D89A4C50 0000B219
	ds_write_b64 v25, v[180:181] offset:20064                  // 000000009CD0: D89A4E60 0000B419
	ds_write_b64 v25, v[182:183] offset:20592                  // 000000009CD8: D89A5070 0000B619
	s_waitcnt lgkmcnt(0)                                       // 000000009CE0: BF8CC07F
	s_barrier                                                  // 000000009CE4: BF8A0000
	ds_read_b64 v[168:169], v24 offset:16896                   // 000000009CE8: D8EC4200 A8000018
	ds_read_b64 v[170:171], v24 offset:17024                   // 000000009CF0: D8EC4280 AA000018
	ds_read_b64 v[172:173], v24 offset:16928                   // 000000009CF8: D8EC4220 AC000018
	ds_read_b64 v[174:175], v24 offset:17056                   // 000000009D00: D8EC42A0 AE000018
	ds_read_b64 v[176:177], v24 offset:16960                   // 000000009D08: D8EC4240 B0000018
	ds_read_b64 v[178:179], v24 offset:17088                   // 000000009D10: D8EC42C0 B2000018
	ds_read_b64 v[180:181], v24 offset:16992                   // 000000009D18: D8EC4260 B4000018
	ds_read_b64 v[182:183], v24 offset:17120                   // 000000009D20: D8EC42E0 B6000018
	s_waitcnt lgkmcnt(0)                                       // 000000009D28: BF8CC07F
	s_mov_b32 s70, s53                                         // 000000009D2C: BEC60035
	s_mov_b64 exec, s[88:89]                                   // 000000009D30: BEFE0158
	buffer_store_dwordx4 v[168:171], v6, s[40:43], 0 idxen     // 000000009D34: E07C2000 800AA806
	s_mov_b64 exec, s[84:85]                                   // 000000009D3C: BEFE0154
	v_add_u32_e32 v6, s70, v6                                  // 000000009D40: 680C0C46
	s_mov_b64 exec, s[88:89]                                   // 000000009D44: BEFE0158
	buffer_store_dwordx4 v[172:175], v6, s[40:43], 0 idxen     // 000000009D48: E07C2000 800AAC06
	s_mov_b64 exec, s[84:85]                                   // 000000009D50: BEFE0154
	v_add_u32_e32 v6, s70, v6                                  // 000000009D54: 680C0C46
	s_mov_b64 exec, s[88:89]                                   // 000000009D58: BEFE0158
	buffer_store_dwordx4 v[176:179], v6, s[40:43], 0 idxen     // 000000009D5C: E07C2000 800AB006
	s_mov_b64 exec, s[84:85]                                   // 000000009D64: BEFE0154
	v_add_u32_e32 v6, s70, v6                                  // 000000009D68: 680C0C46
	s_mov_b64 exec, s[88:89]                                   // 000000009D6C: BEFE0158
	buffer_store_dwordx4 v[180:183], v6, s[40:43], 0 idxen     // 000000009D70: E07C2000 800AB406
	s_mov_b64 exec, s[84:85]                                   // 000000009D78: BEFE0154
	v_add_u32_e32 v6, s70, v6                                  // 000000009D7C: 680C0C46
	s_mul_i32 s60, 12, s70                                     // 000000009D80: 923C468C
	v_add_u32_e32 v6, s60, v6                                  // 000000009D84: 680C0C3C
	s_cmp_ge_i32 2, s73                                        // 000000009D88: BF034982
	s_cbranch_scc1 label_1874                                  // 000000009D8C: BF85007C
	v_mov_b32_e32 v28, v216                                    // 000000009D90: 7E3803D8
	v_mov_b32_e32 v29, v217                                    // 000000009D94: 7E3A03D9
	v_cvt_pkrtz_f16_f32 v184, v28, v29                         // 000000009D98: D29600B8 00023B1C
	v_mov_b32_e32 v28, v218                                    // 000000009DA0: 7E3803DA
	v_mov_b32_e32 v29, v219                                    // 000000009DA4: 7E3A03DB
	v_cvt_pkrtz_f16_f32 v185, v28, v29                         // 000000009DA8: D29600B9 00023B1C
	v_mov_b32_e32 v28, v220                                    // 000000009DB0: 7E3803DC
	v_mov_b32_e32 v29, v221                                    // 000000009DB4: 7E3A03DD
	v_cvt_pkrtz_f16_f32 v186, v28, v29                         // 000000009DB8: D29600BA 00023B1C
	v_mov_b32_e32 v28, v222                                    // 000000009DC0: 7E3803DE
	v_mov_b32_e32 v29, v223                                    // 000000009DC4: 7E3A03DF
	v_cvt_pkrtz_f16_f32 v187, v28, v29                         // 000000009DC8: D29600BB 00023B1C
	v_mov_b32_e32 v28, v224                                    // 000000009DD0: 7E3803E0
	v_mov_b32_e32 v29, v225                                    // 000000009DD4: 7E3A03E1
	v_cvt_pkrtz_f16_f32 v188, v28, v29                         // 000000009DD8: D29600BC 00023B1C
	v_mov_b32_e32 v28, v226                                    // 000000009DE0: 7E3803E2
	v_mov_b32_e32 v29, v227                                    // 000000009DE4: 7E3A03E3
	v_cvt_pkrtz_f16_f32 v189, v28, v29                         // 000000009DE8: D29600BD 00023B1C
	v_mov_b32_e32 v28, v228                                    // 000000009DF0: 7E3803E4
	v_mov_b32_e32 v29, v229                                    // 000000009DF4: 7E3A03E5
	v_cvt_pkrtz_f16_f32 v190, v28, v29                         // 000000009DF8: D29600BE 00023B1C
	v_mov_b32_e32 v28, v230                                    // 000000009E00: 7E3803E6
	v_mov_b32_e32 v29, v231                                    // 000000009E04: 7E3A03E7
	v_cvt_pkrtz_f16_f32 v191, v28, v29                         // 000000009E08: D29600BF 00023B1C
	v_mov_b32_e32 v28, v232                                    // 000000009E10: 7E3803E8
	v_mov_b32_e32 v29, v233                                    // 000000009E14: 7E3A03E9
	v_cvt_pkrtz_f16_f32 v192, v28, v29                         // 000000009E18: D29600C0 00023B1C
	v_mov_b32_e32 v28, v234                                    // 000000009E20: 7E3803EA
	v_mov_b32_e32 v29, v235                                    // 000000009E24: 7E3A03EB
	v_cvt_pkrtz_f16_f32 v193, v28, v29                         // 000000009E28: D29600C1 00023B1C
	v_mov_b32_e32 v28, v236                                    // 000000009E30: 7E3803EC
	v_mov_b32_e32 v29, v237                                    // 000000009E34: 7E3A03ED
	v_cvt_pkrtz_f16_f32 v194, v28, v29                         // 000000009E38: D29600C2 00023B1C
	v_mov_b32_e32 v28, v238                                    // 000000009E40: 7E3803EE
	v_mov_b32_e32 v29, v239                                    // 000000009E44: 7E3A03EF
	v_cvt_pkrtz_f16_f32 v195, v28, v29                         // 000000009E48: D29600C3 00023B1C
	v_mov_b32_e32 v28, v240                                    // 000000009E50: 7E3803F0
	v_mov_b32_e32 v29, v241                                    // 000000009E54: 7E3A03F1
	v_cvt_pkrtz_f16_f32 v196, v28, v29                         // 000000009E58: D29600C4 00023B1C
	v_mov_b32_e32 v28, v242                                    // 000000009E60: 7E3803F2
	v_mov_b32_e32 v29, v243                                    // 000000009E64: 7E3A03F3
	v_cvt_pkrtz_f16_f32 v197, v28, v29                         // 000000009E68: D29600C5 00023B1C
	v_mov_b32_e32 v28, v244                                    // 000000009E70: 7E3803F4
	v_mov_b32_e32 v29, v245                                    // 000000009E74: 7E3A03F5
	v_cvt_pkrtz_f16_f32 v198, v28, v29                         // 000000009E78: D29600C6 00023B1C
	v_mov_b32_e32 v28, v246                                    // 000000009E80: 7E3803F6
	v_mov_b32_e32 v29, v247                                    // 000000009E84: 7E3A03F7
	v_cvt_pkrtz_f16_f32 v199, v28, v29                         // 000000009E88: D29600C7 00023B1C
	ds_write_b64 v25, v[184:185] offset:33792                  // 000000009E90: D89A8400 0000B819
	ds_write_b64 v25, v[186:187] offset:34320                  // 000000009E98: D89A8610 0000BA19
	ds_write_b64 v25, v[188:189] offset:34848                  // 000000009EA0: D89A8820 0000BC19
	ds_write_b64 v25, v[190:191] offset:35376                  // 000000009EA8: D89A8A30 0000BE19
	ds_write_b64 v25, v[192:193] offset:35904                  // 000000009EB0: D89A8C40 0000C019
	ds_write_b64 v25, v[194:195] offset:36432                  // 000000009EB8: D89A8E50 0000C219
	ds_write_b64 v25, v[196:197] offset:36960                  // 000000009EC0: D89A9060 0000C419
	ds_write_b64 v25, v[198:199] offset:37488                  // 000000009EC8: D89A9270 0000C619
	s_waitcnt lgkmcnt(0)                                       // 000000009ED0: BF8CC07F
	s_barrier                                                  // 000000009ED4: BF8A0000
	ds_read_b64 v[184:185], v24 offset:33792                   // 000000009ED8: D8EC8400 B8000018
	ds_read_b64 v[186:187], v24 offset:33920                   // 000000009EE0: D8EC8480 BA000018
	ds_read_b64 v[188:189], v24 offset:33824                   // 000000009EE8: D8EC8420 BC000018
	ds_read_b64 v[190:191], v24 offset:33952                   // 000000009EF0: D8EC84A0 BE000018
	ds_read_b64 v[192:193], v24 offset:33856                   // 000000009EF8: D8EC8440 C0000018
	ds_read_b64 v[194:195], v24 offset:33984                   // 000000009F00: D8EC84C0 C2000018
	ds_read_b64 v[196:197], v24 offset:33888                   // 000000009F08: D8EC8460 C4000018
	ds_read_b64 v[198:199], v24 offset:34016                   // 000000009F10: D8EC84E0 C6000018
	s_waitcnt lgkmcnt(0)                                       // 000000009F18: BF8CC07F
	s_mov_b32 s70, s53                                         // 000000009F1C: BEC60035
	s_mov_b64 exec, s[88:89]                                   // 000000009F20: BEFE0158
	buffer_store_dwordx4 v[184:187], v6, s[40:43], 0 idxen     // 000000009F24: E07C2000 800AB806
	s_mov_b64 exec, s[84:85]                                   // 000000009F2C: BEFE0154
	v_add_u32_e32 v6, s70, v6                                  // 000000009F30: 680C0C46
	s_mov_b64 exec, s[88:89]                                   // 000000009F34: BEFE0158
	buffer_store_dwordx4 v[188:191], v6, s[40:43], 0 idxen     // 000000009F38: E07C2000 800ABC06
	s_mov_b64 exec, s[84:85]                                   // 000000009F40: BEFE0154
	v_add_u32_e32 v6, s70, v6                                  // 000000009F44: 680C0C46
	s_mov_b64 exec, s[88:89]                                   // 000000009F48: BEFE0158
	buffer_store_dwordx4 v[192:195], v6, s[40:43], 0 idxen     // 000000009F4C: E07C2000 800AC006
	s_mov_b64 exec, s[84:85]                                   // 000000009F54: BEFE0154
	v_add_u32_e32 v6, s70, v6                                  // 000000009F58: 680C0C46
	s_mov_b64 exec, s[88:89]                                   // 000000009F5C: BEFE0158
	buffer_store_dwordx4 v[196:199], v6, s[40:43], 0 idxen     // 000000009F60: E07C2000 800AC406
	s_mov_b64 exec, s[84:85]                                   // 000000009F68: BEFE0154
	v_add_u32_e32 v6, s70, v6                                  // 000000009F6C: 680C0C46
	s_mul_i32 s60, 12, s70                                     // 000000009F70: 923C468C
	v_add_u32_e32 v6, s60, v6                                  // 000000009F74: 680C0C3C
	s_cmp_ge_i32 3, s73                                        // 000000009F78: BF034983
	s_cbranch_scc1 label_1874                                  // 000000009F7C: BF850000

0000000000009f80 <label_1874>:
	s_waitcnt vmcnt(0) expcnt(0) lgkmcnt(0)                    // 000000009F80: BF8C0000
	s_endpgm                                                   // 000000009F84: BF810000
